;; amdgpu-corpus repo=ROCm/rocFFT kind=compiled arch=gfx906 opt=O3
	.text
	.amdgcn_target "amdgcn-amd-amdhsa--gfx906"
	.amdhsa_code_object_version 6
	.protected	bluestein_single_fwd_len195_dim1_sp_op_CI_CI ; -- Begin function bluestein_single_fwd_len195_dim1_sp_op_CI_CI
	.globl	bluestein_single_fwd_len195_dim1_sp_op_CI_CI
	.p2align	8
	.type	bluestein_single_fwd_len195_dim1_sp_op_CI_CI,@function
bluestein_single_fwd_len195_dim1_sp_op_CI_CI: ; @bluestein_single_fwd_len195_dim1_sp_op_CI_CI
; %bb.0:
	s_load_dwordx4 s[8:11], s[4:5], 0x28
	v_mul_u32_u24_e32 v1, 0x13b2, v0
	v_lshrrev_b32_e32 v4, 16, v1
	v_lshl_add_u32 v98, s6, 2, v4
	v_mov_b32_e32 v99, 0
	s_waitcnt lgkmcnt(0)
	v_cmp_gt_u64_e32 vcc, s[8:9], v[98:99]
	s_and_saveexec_b64 s[0:1], vcc
	s_cbranch_execz .LBB0_15
; %bb.1:
	s_load_dwordx4 s[0:3], s[4:5], 0x18
	v_mul_lo_u16_e32 v1, 13, v4
	v_sub_u16_e32 v117, v0, v1
	v_lshlrev_b32_e32 v62, 3, v117
	v_and_b32_e32 v4, 3, v4
	s_waitcnt lgkmcnt(0)
	s_load_dwordx4 s[12:15], s[0:1], 0x0
	v_mul_u32_u24_e32 v4, 0xc3, v4
	v_lshlrev_b32_e32 v121, 3, v4
	v_add_u32_e32 v118, v121, v62
	v_or_b32_e32 v120, 28, v117
	s_waitcnt lgkmcnt(0)
	v_mad_u64_u32 v[5:6], s[0:1], s12, v117, 0
	v_mad_u64_u32 v[0:1], s[0:1], s14, v98, 0
	v_mov_b32_e32 v2, v6
	v_or_b32_e32 v119, 58, v117
	v_mad_u64_u32 v[6:7], s[0:1], s15, v98, v[1:2]
	v_mad_u64_u32 v[2:3], s[0:1], s13, v117, v[2:3]
	v_mov_b32_e32 v1, v6
	v_lshlrev_b64 v[0:1], 3, v[0:1]
	v_mov_b32_e32 v3, s11
	v_mov_b32_e32 v6, v2
	v_add_co_u32_e32 v2, vcc, s10, v0
	v_addc_co_u32_e32 v3, vcc, v3, v1, vcc
	v_lshlrev_b64 v[0:1], 3, v[5:6]
	s_mul_i32 s0, s13, 0x78
	v_add_co_u32_e32 v0, vcc, v2, v0
	s_mul_hi_u32 s1, s12, 0x78
	v_addc_co_u32_e32 v1, vcc, v3, v1, vcc
	s_add_i32 s0, s1, s0
	s_mul_i32 s1, s12, 0x78
	v_mov_b32_e32 v6, s0
	v_add_co_u32_e32 v5, vcc, s1, v0
	v_addc_co_u32_e32 v6, vcc, v1, v6, vcc
	v_mov_b32_e32 v8, s0
	v_add_co_u32_e32 v7, vcc, s1, v5
	v_addc_co_u32_e32 v8, vcc, v6, v8, vcc
	v_mov_b32_e32 v10, s0
	v_add_co_u32_e32 v9, vcc, s1, v7
	s_load_dwordx2 s[14:15], s[4:5], 0x0
	v_addc_co_u32_e32 v10, vcc, v8, v10, vcc
	global_load_dwordx2 v[11:12], v[0:1], off
	global_load_dwordx2 v[13:14], v[5:6], off
	;; [unrolled: 1-line block ×4, first 2 shown]
	s_waitcnt lgkmcnt(0)
	global_load_dwordx2 v[111:112], v62, s[14:15]
	global_load_dwordx2 v[109:110], v62, s[14:15] offset:120
	global_load_dwordx2 v[105:106], v62, s[14:15] offset:240
	;; [unrolled: 1-line block ×3, first 2 shown]
	v_mov_b32_e32 v1, s0
	v_add_co_u32_e32 v0, vcc, s1, v9
	v_addc_co_u32_e32 v1, vcc, v10, v1, vcc
	global_load_dwordx2 v[5:6], v[0:1], off
	v_mov_b32_e32 v7, s0
	v_add_co_u32_e32 v0, vcc, s1, v0
	v_addc_co_u32_e32 v1, vcc, v1, v7, vcc
	global_load_dwordx2 v[7:8], v[0:1], off
	;; [unrolled: 4-line block ×4, first 2 shown]
	global_load_dwordx2 v[107:108], v62, s[14:15] offset:480
	global_load_dwordx2 v[103:104], v62, s[14:15] offset:600
	;; [unrolled: 1-line block ×4, first 2 shown]
	v_mov_b32_e32 v21, s0
	v_add_co_u32_e32 v0, vcc, s1, v0
	v_addc_co_u32_e32 v1, vcc, v1, v21, vcc
	global_load_dwordx2 v[21:22], v[0:1], off
	v_mov_b32_e32 v23, s0
	v_add_co_u32_e32 v0, vcc, s1, v0
	v_addc_co_u32_e32 v1, vcc, v1, v23, vcc
	global_load_dwordx2 v[23:24], v[0:1], off
	global_load_dwordx2 v[96:97], v62, s[14:15] offset:960
	global_load_dwordx2 v[90:91], v62, s[14:15] offset:1080
	v_mov_b32_e32 v25, s0
	v_add_co_u32_e32 v0, vcc, s1, v0
	v_addc_co_u32_e32 v1, vcc, v1, v25, vcc
	global_load_dwordx2 v[25:26], v[0:1], off
	v_mov_b32_e32 v27, s0
	v_add_co_u32_e32 v0, vcc, s1, v0
	v_addc_co_u32_e32 v1, vcc, v1, v27, vcc
	global_load_dwordx2 v[92:93], v62, s[14:15] offset:1200
	global_load_dwordx2 v[27:28], v[0:1], off
	global_load_dwordx2 v[88:89], v62, s[14:15] offset:1320
	v_mov_b32_e32 v29, s0
	v_add_co_u32_e32 v0, vcc, s1, v0
	v_addc_co_u32_e32 v1, vcc, v1, v29, vcc
	global_load_dwordx2 v[29:30], v[0:1], off
	global_load_dwordx2 v[86:87], v62, s[14:15] offset:1440
	v_mov_b32_e32 v31, s15
	v_add_co_u32_e32 v84, vcc, s14, v62
	v_addc_co_u32_e32 v85, vcc, 0, v31, vcc
	s_load_dwordx2 s[6:7], s[4:5], 0x38
	s_load_dwordx4 s[8:11], s[2:3], 0x0
	v_cmp_gt_u16_e32 vcc, 2, v117
	s_waitcnt vmcnt(21)
	v_mul_f32_e32 v31, v12, v112
	v_mul_f32_e32 v4, v11, v112
	v_fmac_f32_e32 v31, v11, v111
	v_fma_f32 v32, v12, v111, -v4
	s_waitcnt vmcnt(20)
	v_mul_f32_e32 v11, v14, v110
	v_mul_f32_e32 v4, v13, v110
	v_fmac_f32_e32 v11, v13, v109
	v_fma_f32 v12, v14, v109, -v4
	s_waitcnt vmcnt(19)
	v_mul_f32_e32 v4, v15, v106
	ds_write2_b64 v118, v[31:32], v[11:12] offset1:15
	v_fma_f32 v12, v16, v105, -v4
	s_waitcnt vmcnt(18)
	v_mul_f32_e32 v4, v17, v102
	v_fma_f32 v14, v18, v101, -v4
	v_mul_f32_e32 v11, v16, v106
	v_mul_f32_e32 v13, v18, v102
	v_fmac_f32_e32 v11, v15, v105
	v_fmac_f32_e32 v13, v17, v101
	ds_write2_b64 v118, v[11:12], v[13:14] offset0:30 offset1:45
	s_waitcnt vmcnt(13)
	v_mul_f32_e32 v4, v6, v108
	v_fmac_f32_e32 v4, v5, v107
	v_mul_f32_e32 v5, v5, v108
	v_fma_f32 v5, v6, v107, -v5
	s_waitcnt vmcnt(12)
	v_mul_f32_e32 v6, v8, v104
	v_fmac_f32_e32 v6, v7, v103
	v_mul_f32_e32 v7, v7, v104
	v_fma_f32 v7, v8, v103, -v7
	ds_write2_b64 v118, v[4:5], v[6:7] offset0:60 offset1:75
	s_waitcnt vmcnt(11)
	v_mul_f32_e32 v4, v10, v100
	v_mul_f32_e32 v5, v9, v100
	s_waitcnt vmcnt(10)
	v_mul_f32_e32 v6, v20, v95
	v_mul_f32_e32 v7, v19, v95
	v_fmac_f32_e32 v4, v9, v99
	v_fma_f32 v5, v10, v99, -v5
	v_fmac_f32_e32 v6, v19, v94
	v_fma_f32 v7, v20, v94, -v7
	ds_write2_b64 v118, v[4:5], v[6:7] offset0:90 offset1:105
	s_waitcnt vmcnt(7)
	v_mul_f32_e32 v4, v22, v97
	v_mul_f32_e32 v5, v21, v97
	s_waitcnt vmcnt(6)
	v_mul_f32_e32 v6, v24, v91
	v_mul_f32_e32 v7, v23, v91
	v_fmac_f32_e32 v4, v21, v96
	v_fma_f32 v5, v22, v96, -v5
	v_fmac_f32_e32 v6, v23, v90
	;; [unrolled: 11-line block ×3, first 2 shown]
	v_fma_f32 v7, v28, v88, -v7
	ds_write2_b64 v118, v[4:5], v[6:7] offset0:150 offset1:165
	s_waitcnt vmcnt(0)
	v_mul_f32_e32 v4, v30, v87
	v_mul_f32_e32 v5, v29, v87
	v_fmac_f32_e32 v4, v29, v86
	v_fma_f32 v5, v30, v86, -v5
	ds_write_b64 v118, v[4:5] offset:1440
	s_and_saveexec_b64 s[2:3], vcc
	s_cbranch_execz .LBB0_3
; %bb.2:
	v_mov_b32_e32 v4, 0xfffffac8
	v_mad_u64_u32 v[0:1], s[0:1], s12, v4, v[0:1]
	s_mul_i32 s0, s13, 0xfffffac8
	s_sub_i32 s0, s0, s12
	v_add_u32_e32 v1, s0, v1
	global_load_dwordx2 v[4:5], v[0:1], off
	global_load_dwordx2 v[6:7], v[84:85], off offset:104
	s_mul_hi_u32 s16, s12, 0xf0
	s_mul_i32 s17, s12, 0xf0
	s_waitcnt vmcnt(0)
	v_mul_f32_e32 v8, v5, v7
	v_fmac_f32_e32 v8, v4, v6
	v_mul_f32_e32 v4, v4, v7
	v_fma_f32 v9, v5, v6, -v4
	v_mad_u64_u32 v[4:5], s[0:1], s12, v120, 0
	v_mad_u64_u32 v[5:6], s[0:1], s13, v120, v[5:6]
	v_lshlrev_b64 v[4:5], 3, v[4:5]
	v_add_co_u32_e64 v4, s[0:1], v2, v4
	v_addc_co_u32_e64 v5, s[0:1], v3, v5, s[0:1]
	global_load_dwordx2 v[6:7], v[4:5], off
	global_load_dwordx2 v[10:11], v[84:85], off offset:224
	s_mul_i32 s0, s13, 0xf0
	s_add_i32 s16, s16, s0
	v_add_co_u32_e64 v0, s[0:1], s17, v0
	s_waitcnt vmcnt(0)
	v_mul_f32_e32 v4, v7, v11
	v_mul_f32_e32 v5, v6, v11
	v_fmac_f32_e32 v4, v6, v10
	v_fma_f32 v5, v7, v10, -v5
	ds_write2_b64 v118, v[8:9], v[4:5] offset0:13 offset1:28
	v_mov_b32_e32 v4, s16
	v_addc_co_u32_e64 v1, s[0:1], v1, v4, s[0:1]
	global_load_dwordx2 v[4:5], v[0:1], off
	global_load_dwordx2 v[6:7], v[84:85], off offset:344
	s_waitcnt vmcnt(0)
	v_mul_f32_e32 v8, v5, v7
	v_fmac_f32_e32 v8, v4, v6
	v_mul_f32_e32 v4, v4, v7
	v_fma_f32 v9, v5, v6, -v4
	v_mad_u64_u32 v[4:5], s[0:1], s12, v119, 0
	v_mad_u64_u32 v[5:6], s[0:1], s13, v119, v[5:6]
	v_lshlrev_b64 v[4:5], 3, v[4:5]
	v_add_co_u32_e64 v4, s[0:1], v2, v4
	v_addc_co_u32_e64 v5, s[0:1], v3, v5, s[0:1]
	global_load_dwordx2 v[6:7], v[4:5], off
	global_load_dwordx2 v[10:11], v[84:85], off offset:464
	v_add_co_u32_e64 v0, s[0:1], s17, v0
	s_waitcnt vmcnt(0)
	v_mul_f32_e32 v4, v7, v11
	v_mul_f32_e32 v5, v6, v11
	v_fmac_f32_e32 v4, v6, v10
	v_fma_f32 v5, v7, v10, -v5
	ds_write2_b64 v118, v[8:9], v[4:5] offset0:43 offset1:58
	v_mov_b32_e32 v4, s16
	v_addc_co_u32_e64 v1, s[0:1], v1, v4, s[0:1]
	global_load_dwordx2 v[4:5], v[0:1], off
	global_load_dwordx2 v[6:7], v[84:85], off offset:584
	s_waitcnt vmcnt(0)
	v_mul_f32_e32 v8, v5, v7
	v_fmac_f32_e32 v8, v4, v6
	v_mul_f32_e32 v4, v4, v7
	v_fma_f32 v9, v5, v6, -v4
	v_or_b32_e32 v6, 0x58, v117
	v_mad_u64_u32 v[4:5], s[0:1], s12, v6, 0
	v_mad_u64_u32 v[5:6], s[0:1], s13, v6, v[5:6]
	v_lshlrev_b64 v[4:5], 3, v[4:5]
	v_add_co_u32_e64 v4, s[0:1], v2, v4
	v_addc_co_u32_e64 v5, s[0:1], v3, v5, s[0:1]
	global_load_dwordx2 v[6:7], v[4:5], off
	global_load_dwordx2 v[10:11], v[84:85], off offset:704
	v_add_co_u32_e64 v0, s[0:1], s17, v0
	s_waitcnt vmcnt(0)
	v_mul_f32_e32 v4, v7, v11
	v_mul_f32_e32 v5, v6, v11
	v_fmac_f32_e32 v4, v6, v10
	v_fma_f32 v5, v7, v10, -v5
	ds_write2_b64 v118, v[8:9], v[4:5] offset0:73 offset1:88
	v_mov_b32_e32 v4, s16
	v_addc_co_u32_e64 v1, s[0:1], v1, v4, s[0:1]
	global_load_dwordx2 v[4:5], v[0:1], off
	global_load_dwordx2 v[6:7], v[84:85], off offset:824
	s_waitcnt vmcnt(0)
	v_mul_f32_e32 v8, v5, v7
	v_fmac_f32_e32 v8, v4, v6
	v_mul_f32_e32 v4, v4, v7
	v_fma_f32 v9, v5, v6, -v4
	v_or_b32_e32 v6, 0x76, v117
	;; [unrolled: 24-line block ×4, first 2 shown]
	v_mad_u64_u32 v[4:5], s[0:1], s12, v6, 0
	v_mad_u64_u32 v[5:6], s[0:1], s13, v6, v[5:6]
	v_lshlrev_b64 v[4:5], 3, v[4:5]
	v_add_co_u32_e64 v2, s[0:1], v2, v4
	v_addc_co_u32_e64 v3, s[0:1], v3, v5, s[0:1]
	global_load_dwordx2 v[4:5], v[2:3], off
	global_load_dwordx2 v[6:7], v[84:85], off offset:1424
	v_add_co_u32_e64 v0, s[0:1], s17, v0
	s_waitcnt vmcnt(0)
	v_mul_f32_e32 v2, v5, v7
	v_mul_f32_e32 v3, v4, v7
	v_fmac_f32_e32 v2, v4, v6
	v_fma_f32 v3, v5, v6, -v3
	ds_write2_b64 v118, v[8:9], v[2:3] offset0:163 offset1:178
	v_mov_b32_e32 v2, s16
	v_addc_co_u32_e64 v1, s[0:1], v1, v2, s[0:1]
	global_load_dwordx2 v[2:3], v[0:1], off
	global_load_dwordx2 v[4:5], v[84:85], off offset:1544
	s_waitcnt vmcnt(0)
	v_mul_f32_e32 v0, v3, v5
	v_mul_f32_e32 v1, v2, v5
	v_fmac_f32_e32 v0, v2, v4
	v_fma_f32 v1, v3, v4, -v1
	ds_write_b64 v118, v[0:1] offset:1544
.LBB0_3:
	s_or_b64 exec, exec, s[2:3]
	s_waitcnt lgkmcnt(0)
	; wave barrier
	s_waitcnt lgkmcnt(0)
	ds_read2_b64 v[44:47], v118 offset1:15
	ds_read2_b64 v[28:31], v118 offset0:30 offset1:45
	ds_read2_b64 v[20:23], v118 offset0:60 offset1:75
	;; [unrolled: 1-line block ×5, first 2 shown]
	ds_read_b64 v[52:53], v118 offset:1440
	s_load_dwordx2 s[2:3], s[4:5], 0x8
	v_mov_b32_e32 v0, 0
	v_mov_b32_e32 v1, 0
                                        ; implicit-def: $vgpr6
                                        ; implicit-def: $vgpr8
                                        ; implicit-def: $vgpr36
                                        ; implicit-def: $vgpr48
                                        ; implicit-def: $vgpr34
                                        ; implicit-def: $vgpr14
	s_and_saveexec_b64 s[0:1], vcc
	s_cbranch_execz .LBB0_5
; %bb.4:
	ds_read2_b64 v[0:3], v118 offset0:13 offset1:28
	ds_read2_b64 v[12:15], v118 offset0:43 offset1:58
	;; [unrolled: 1-line block ×6, first 2 shown]
	ds_read_b64 v[48:49], v118 offset:1544
.LBB0_5:
	s_or_b64 exec, exec, s[0:1]
	s_waitcnt lgkmcnt(0)
	v_add_f32_e32 v50, v44, v46
	v_add_f32_e32 v51, v45, v47
	;; [unrolled: 1-line block ×19, first 2 shown]
	v_add_co_u32_e64 v56, s[0:1], 13, v117
	v_add_f32_e32 v51, v51, v41
	v_add_f32_e32 v50, v50, v42
	;; [unrolled: 1-line block ×4, first 2 shown]
	v_sub_f32_e32 v46, v46, v52
	v_sub_f32_e32 v47, v47, v53
	v_add_f32_e32 v51, v51, v43
	v_add_f32_e32 v50, v50, v52
	v_mul_f32_e32 v52, 0xbeedf032, v47
	s_mov_b32 s4, 0x3f62ad3f
	v_mul_f32_e32 v57, 0xbeedf032, v46
	v_mul_f32_e32 v59, 0xbf52af12, v47
	s_mov_b32 s1, 0x3f116cb1
	v_mul_f32_e32 v61, 0xbf52af12, v46
	;; [unrolled: 3-line block ×6, first 2 shown]
	v_add_f32_e32 v51, v51, v53
	v_fma_f32 v53, v54, s4, -v52
	v_mov_b32_e32 v58, v57
	v_fmac_f32_e32 v52, 0x3f62ad3f, v54
	v_fma_f32 v60, v54, s1, -v59
	v_mov_b32_e32 v63, v61
	v_fmac_f32_e32 v59, 0x3f116cb1, v54
	;; [unrolled: 3-line block ×6, first 2 shown]
	v_add_f32_e32 v53, v44, v53
	v_fmac_f32_e32 v58, 0x3f62ad3f, v55
	v_add_f32_e32 v52, v44, v52
	v_fma_f32 v57, v55, s4, -v57
	v_add_f32_e32 v60, v44, v60
	v_fmac_f32_e32 v63, 0x3f116cb1, v55
	v_add_f32_e32 v59, v44, v59
	v_fma_f32 v61, v55, s1, -v61
	;; [unrolled: 4-line block ×6, first 2 shown]
	v_add_f32_e32 v47, v43, v29
	v_sub_f32_e32 v29, v29, v43
	v_add_f32_e32 v58, v45, v58
	v_add_f32_e32 v57, v45, v57
	;; [unrolled: 1-line block ×13, first 2 shown]
	v_sub_f32_e32 v28, v28, v42
	v_mul_f32_e32 v42, 0xbf52af12, v29
	v_fma_f32 v43, v46, s1, -v42
	v_add_f32_e32 v43, v43, v53
	v_mul_f32_e32 v53, 0xbf52af12, v28
	v_fmac_f32_e32 v42, 0x3f116cb1, v46
	v_mov_b32_e32 v54, v53
	v_add_f32_e32 v42, v42, v52
	v_fma_f32 v52, v47, s1, -v53
	v_mul_f32_e32 v53, 0xbf6f5d39, v29
	v_fmac_f32_e32 v54, 0x3f116cb1, v47
	v_add_f32_e32 v52, v52, v57
	v_fma_f32 v55, v46, s5, -v53
	v_mul_f32_e32 v57, 0xbf6f5d39, v28
	v_fmac_f32_e32 v53, 0xbeb58ec6, v46
	v_add_f32_e32 v54, v54, v58
	v_mov_b32_e32 v58, v57
	v_add_f32_e32 v53, v53, v59
	v_fma_f32 v57, v47, s5, -v57
	v_mul_f32_e32 v59, 0xbe750f2a, v29
	v_add_f32_e32 v55, v55, v60
	v_fmac_f32_e32 v58, 0xbeb58ec6, v47
	v_add_f32_e32 v57, v57, v61
	v_fma_f32 v60, v46, s13, -v59
	v_mul_f32_e32 v61, 0xbe750f2a, v28
	v_fmac_f32_e32 v59, 0xbf788fa5, v46
	v_add_f32_e32 v58, v58, v63
	v_mov_b32_e32 v63, v61
	v_add_f32_e32 v59, v59, v64
	v_fma_f32 v61, v47, s13, -v61
	v_mul_f32_e32 v64, 0x3f29c268, v29
	v_add_f32_e32 v60, v60, v65
	;; [unrolled: 11-line block ×3, first 2 shown]
	v_add_f32_e32 v66, v66, v70
	v_fma_f32 v69, v46, s0, -v68
	v_mul_f32_e32 v70, 0x3f7e222b, v28
	v_mul_f32_e32 v28, 0x3eedf032, v28
	v_add_f32_e32 v69, v69, v73
	v_fmac_f32_e32 v68, 0x3df6dbef, v46
	v_mul_f32_e32 v29, 0x3eedf032, v29
	v_mov_b32_e32 v73, v28
	v_fma_f32 v28, v47, s4, -v28
	v_add_f32_e32 v68, v68, v72
	v_fma_f32 v72, v46, s4, -v29
	v_fmac_f32_e32 v29, 0x3f62ad3f, v46
	v_add_f32_e32 v28, v28, v45
	v_add_f32_e32 v45, v41, v31
	v_sub_f32_e32 v31, v31, v41
	v_add_f32_e32 v29, v29, v44
	v_add_f32_e32 v44, v40, v30
	v_sub_f32_e32 v30, v30, v40
	v_mul_f32_e32 v40, 0xbf7e222b, v31
	v_fma_f32 v41, v44, s0, -v40
	v_fmac_f32_e32 v67, 0xbf3f9e67, v47
	v_add_f32_e32 v41, v41, v43
	v_mul_f32_e32 v43, 0xbf7e222b, v30
	v_fmac_f32_e32 v40, 0x3df6dbef, v44
	v_add_f32_e32 v67, v67, v71
	v_mov_b32_e32 v71, v70
	v_mov_b32_e32 v46, v43
	v_add_f32_e32 v40, v40, v42
	v_fma_f32 v42, v45, s0, -v43
	v_mul_f32_e32 v43, 0xbe750f2a, v31
	v_fmac_f32_e32 v71, 0x3df6dbef, v47
	v_fma_f32 v70, v47, s0, -v70
	v_fmac_f32_e32 v73, 0x3f62ad3f, v47
	v_fma_f32 v47, v44, s13, -v43
	v_fmac_f32_e32 v43, 0xbf788fa5, v44
	v_fmac_f32_e32 v46, 0x3df6dbef, v45
	v_add_f32_e32 v42, v42, v52
	v_mul_f32_e32 v52, 0xbe750f2a, v30
	v_add_f32_e32 v43, v43, v53
	v_mul_f32_e32 v53, 0x3f6f5d39, v31
	v_add_f32_e32 v46, v46, v54
	v_add_f32_e32 v47, v47, v55
	v_mov_b32_e32 v54, v52
	v_fma_f32 v52, v45, s13, -v52
	v_fma_f32 v55, v44, s5, -v53
	v_fmac_f32_e32 v53, 0xbeb58ec6, v44
	v_fmac_f32_e32 v54, 0xbf788fa5, v45
	v_add_f32_e32 v52, v52, v57
	v_mul_f32_e32 v57, 0x3f6f5d39, v30
	v_add_f32_e32 v53, v53, v59
	v_mul_f32_e32 v59, 0x3eedf032, v31
	v_add_f32_e32 v54, v54, v58
	v_add_f32_e32 v55, v55, v60
	v_mov_b32_e32 v58, v57
	v_fma_f32 v57, v45, s5, -v57
	;; [unrolled: 11-line block ×3, first 2 shown]
	v_fma_f32 v65, v44, s1, -v64
	v_fmac_f32_e32 v64, 0x3f116cb1, v44
	v_mul_f32_e32 v31, 0xbf29c268, v31
	v_add_f32_e32 v61, v61, v66
	v_mul_f32_e32 v66, 0xbf52af12, v30
	v_add_f32_e32 v64, v64, v68
	v_fma_f32 v68, v44, s12, -v31
	v_mul_f32_e32 v30, 0xbf29c268, v30
	v_fmac_f32_e32 v31, 0xbf3f9e67, v44
	v_add_f32_e32 v65, v65, v69
	v_mov_b32_e32 v69, v30
	v_add_f32_e32 v29, v31, v29
	v_fma_f32 v30, v45, s12, -v30
	v_add_f32_e32 v31, v27, v21
	v_sub_f32_e32 v21, v21, v27
	v_add_f32_e32 v28, v30, v28
	v_add_f32_e32 v30, v26, v20
	v_sub_f32_e32 v20, v20, v26
	v_mul_f32_e32 v26, 0xbf6f5d39, v21
	v_fma_f32 v27, v30, s5, -v26
	v_fmac_f32_e32 v63, 0x3f62ad3f, v45
	v_add_f32_e32 v27, v27, v41
	v_mul_f32_e32 v41, 0xbf6f5d39, v20
	v_fmac_f32_e32 v26, 0xbeb58ec6, v30
	v_add_f32_e32 v63, v63, v67
	v_mov_b32_e32 v67, v66
	v_mov_b32_e32 v44, v41
	v_add_f32_e32 v26, v26, v40
	v_fma_f32 v40, v31, s5, -v41
	v_mul_f32_e32 v41, 0x3f29c268, v21
	v_fmac_f32_e32 v67, 0x3f116cb1, v45
	v_fma_f32 v66, v45, s1, -v66
	v_fmac_f32_e32 v69, 0xbf3f9e67, v45
	v_fmac_f32_e32 v44, 0xbeb58ec6, v31
	v_add_f32_e32 v40, v40, v42
	v_fma_f32 v42, v30, s12, -v41
	v_mul_f32_e32 v45, 0x3f29c268, v20
	v_fmac_f32_e32 v41, 0xbf3f9e67, v30
	v_add_f32_e32 v44, v44, v46
	v_mov_b32_e32 v46, v45
	v_add_f32_e32 v41, v41, v43
	v_fma_f32 v43, v31, s12, -v45
	v_mul_f32_e32 v45, 0x3eedf032, v21
	v_add_f32_e32 v42, v42, v47
	v_fma_f32 v47, v30, s4, -v45
	v_fmac_f32_e32 v45, 0x3f62ad3f, v30
	v_fmac_f32_e32 v46, 0xbf3f9e67, v31
	v_add_f32_e32 v43, v43, v52
	v_mul_f32_e32 v52, 0x3eedf032, v20
	v_add_f32_e32 v45, v45, v53
	v_mul_f32_e32 v53, 0xbf7e222b, v21
	v_add_f32_e32 v46, v46, v54
	v_add_f32_e32 v47, v47, v55
	v_mov_b32_e32 v54, v52
	v_fma_f32 v52, v31, s4, -v52
	v_fma_f32 v55, v30, s0, -v53
	v_fmac_f32_e32 v53, 0x3df6dbef, v30
	v_fmac_f32_e32 v54, 0x3f62ad3f, v31
	v_add_f32_e32 v52, v52, v57
	v_mul_f32_e32 v57, 0xbf7e222b, v20
	v_add_f32_e32 v53, v53, v59
	v_mul_f32_e32 v59, 0x3e750f2a, v21
	v_add_f32_e32 v54, v54, v58
	v_add_f32_e32 v55, v55, v60
	v_mov_b32_e32 v58, v57
	v_fma_f32 v57, v31, s0, -v57
	v_fma_f32 v60, v30, s13, -v59
	v_fmac_f32_e32 v59, 0xbf788fa5, v30
	v_mul_f32_e32 v21, 0x3f52af12, v21
	v_add_f32_e32 v57, v57, v61
	v_mul_f32_e32 v61, 0x3e750f2a, v20
	v_add_f32_e32 v59, v59, v64
	v_fma_f32 v64, v30, s1, -v21
	v_mul_f32_e32 v20, 0x3f52af12, v20
	v_fmac_f32_e32 v21, 0x3f116cb1, v30
	v_add_f32_e32 v60, v60, v65
	v_mov_b32_e32 v65, v20
	v_add_f32_e32 v21, v21, v29
	v_fma_f32 v20, v31, s1, -v20
	v_add_f32_e32 v29, v25, v23
	v_sub_f32_e32 v23, v23, v25
	v_add_f32_e32 v20, v20, v28
	v_add_f32_e32 v28, v24, v22
	v_sub_f32_e32 v22, v22, v24
	v_mul_f32_e32 v24, 0xbf29c268, v23
	v_fma_f32 v25, v28, s12, -v24
	v_fmac_f32_e32 v58, 0x3df6dbef, v31
	v_add_f32_e32 v25, v25, v27
	v_mul_f32_e32 v27, 0xbf29c268, v22
	v_fmac_f32_e32 v24, 0xbf3f9e67, v28
	v_add_f32_e32 v58, v58, v63
	v_mov_b32_e32 v63, v61
	v_mov_b32_e32 v30, v27
	v_add_f32_e32 v24, v24, v26
	v_fma_f32 v26, v29, s12, -v27
	v_mul_f32_e32 v27, 0x3f7e222b, v23
	v_fmac_f32_e32 v63, 0xbf788fa5, v31
	v_fma_f32 v61, v31, s13, -v61
	v_fmac_f32_e32 v65, 0x3f116cb1, v31
	v_add_f32_e32 v26, v26, v40
	v_fma_f32 v31, v28, s0, -v27
	v_mul_f32_e32 v40, 0x3f7e222b, v22
	v_add_f32_e32 v31, v31, v42
	v_mov_b32_e32 v42, v40
	v_fma_f32 v40, v29, s0, -v40
	v_fmac_f32_e32 v27, 0x3df6dbef, v28
	v_add_f32_e32 v43, v40, v43
	v_mul_f32_e32 v40, 0xbf52af12, v23
	v_fmac_f32_e32 v30, 0xbf3f9e67, v29
	v_add_f32_e32 v27, v27, v41
	v_fma_f32 v41, v28, s1, -v40
	v_add_f32_e32 v30, v30, v44
	v_add_f32_e32 v44, v41, v47
	v_mul_f32_e32 v41, 0xbf52af12, v22
	v_fmac_f32_e32 v40, 0x3f116cb1, v28
	v_add_f32_e32 v45, v40, v45
	v_fma_f32 v40, v29, s1, -v41
	v_fmac_f32_e32 v42, 0x3df6dbef, v29
	v_add_f32_e32 v47, v40, v52
	v_mul_f32_e32 v40, 0x3e750f2a, v23
	v_add_f32_e32 v42, v42, v46
	v_mov_b32_e32 v46, v41
	v_fma_f32 v41, v28, s13, -v40
	v_add_f32_e32 v52, v41, v55
	v_mul_f32_e32 v41, 0x3e750f2a, v22
	v_fmac_f32_e32 v40, 0xbf788fa5, v28
	v_add_f32_e32 v53, v40, v53
	v_fma_f32 v40, v29, s13, -v41
	v_fmac_f32_e32 v46, 0x3f116cb1, v29
	v_add_f32_e32 v55, v40, v57
	v_mul_f32_e32 v40, 0x3eedf032, v23
	v_add_f32_e32 v70, v70, v74
	v_add_f32_e32 v46, v46, v54
	v_mov_b32_e32 v54, v41
	v_fma_f32 v41, v28, s4, -v40
	v_add_f32_e32 v72, v72, v76
	v_add_f32_e32 v66, v66, v70
	;; [unrolled: 1-line block ×3, first 2 shown]
	v_mul_f32_e32 v41, 0x3eedf032, v22
	v_fmac_f32_e32 v40, 0x3f62ad3f, v28
	v_add_f32_e32 v68, v68, v72
	v_add_f32_e32 v61, v61, v66
	;; [unrolled: 1-line block ×3, first 2 shown]
	v_fma_f32 v40, v29, s4, -v41
	v_mul_f32_e32 v23, 0xbf6f5d39, v23
	v_add_f32_e32 v64, v64, v68
	v_add_f32_e32 v60, v40, v61
	v_fma_f32 v40, v28, s5, -v23
	v_mul_f32_e32 v22, 0xbf6f5d39, v22
	v_fmac_f32_e32 v23, 0xbeb58ec6, v28
	v_add_f32_e32 v61, v40, v64
	v_mov_b32_e32 v40, v22
	v_add_f32_e32 v21, v23, v21
	v_fma_f32 v22, v29, s5, -v22
	v_add_f32_e32 v23, v19, v17
	v_sub_f32_e32 v17, v17, v19
	v_add_f32_e32 v71, v71, v75
	v_add_f32_e32 v73, v73, v77
	v_fmac_f32_e32 v54, 0xbf788fa5, v29
	v_add_f32_e32 v20, v22, v20
	v_add_f32_e32 v22, v18, v16
	v_sub_f32_e32 v16, v16, v18
	v_mul_f32_e32 v18, 0xbe750f2a, v17
	v_add_f32_e32 v67, v67, v71
	v_add_f32_e32 v69, v69, v73
	;; [unrolled: 1-line block ×3, first 2 shown]
	v_mov_b32_e32 v58, v41
	v_fma_f32 v19, v22, s13, -v18
	v_add_f32_e32 v63, v63, v67
	v_add_f32_e32 v65, v65, v69
	v_fmac_f32_e32 v58, 0x3f62ad3f, v29
	v_fmac_f32_e32 v40, 0xbeb58ec6, v29
	v_add_f32_e32 v78, v19, v25
	v_mul_f32_e32 v19, 0xbe750f2a, v16
	v_fmac_f32_e32 v18, 0xbf788fa5, v22
	v_add_f32_e32 v58, v58, v63
	v_add_f32_e32 v63, v40, v65
	;; [unrolled: 1-line block ×3, first 2 shown]
	v_fma_f32 v18, v23, s13, -v19
	v_add_f32_e32 v41, v18, v26
	v_mul_f32_e32 v18, 0x3eedf032, v17
	v_mov_b32_e32 v25, v19
	v_fma_f32 v19, v22, s4, -v18
	v_add_f32_e32 v80, v19, v31
	v_mul_f32_e32 v19, 0x3eedf032, v16
	v_mov_b32_e32 v24, v19
	v_fmac_f32_e32 v24, 0x3f62ad3f, v23
	v_fmac_f32_e32 v18, 0x3f62ad3f, v22
	v_add_f32_e32 v81, v24, v42
	v_add_f32_e32 v42, v18, v27
	v_fma_f32 v18, v23, s4, -v19
	v_add_f32_e32 v43, v18, v43
	v_mul_f32_e32 v18, 0xbf29c268, v17
	v_fma_f32 v19, v22, s12, -v18
	v_add_f32_e32 v82, v19, v44
	v_mul_f32_e32 v19, 0xbf29c268, v16
	v_fmac_f32_e32 v18, 0xbf3f9e67, v22
	v_add_f32_e32 v115, v18, v45
	v_fma_f32 v18, v23, s12, -v19
	v_add_f32_e32 v116, v18, v47
	v_mul_f32_e32 v18, 0x3f52af12, v17
	v_mov_b32_e32 v24, v19
	v_fma_f32 v19, v22, s1, -v18
	v_add_f32_e32 v122, v19, v52
	v_mul_f32_e32 v19, 0x3f52af12, v16
	v_fmac_f32_e32 v18, 0x3f116cb1, v22
	v_add_f32_e32 v126, v18, v53
	v_fma_f32 v18, v23, s1, -v19
	v_fmac_f32_e32 v24, 0xbf3f9e67, v23
	v_add_f32_e32 v127, v18, v55
	v_mul_f32_e32 v18, 0xbf6f5d39, v17
	v_add_f32_e32 v83, v24, v46
	v_mov_b32_e32 v24, v19
	v_fma_f32 v19, v22, s5, -v18
	v_add_f32_e32 v128, v19, v57
	v_mul_f32_e32 v19, 0xbf6f5d39, v16
	v_fmac_f32_e32 v18, 0xbeb58ec6, v22
	v_fmac_f32_e32 v24, 0x3f116cb1, v23
	v_add_f32_e32 v130, v18, v59
	v_fma_f32 v18, v23, s5, -v19
	v_mul_f32_e32 v17, 0x3f7e222b, v17
	v_add_f32_e32 v123, v24, v54
	v_mov_b32_e32 v24, v19
	v_add_f32_e32 v131, v18, v60
	v_fma_f32 v18, v22, s0, -v17
	v_mul_f32_e32 v16, 0x3f7e222b, v16
	v_fmac_f32_e32 v17, 0x3df6dbef, v22
	v_fmac_f32_e32 v24, 0xbeb58ec6, v23
	v_add_f32_e32 v132, v18, v61
	v_mov_b32_e32 v18, v16
	v_add_f32_e32 v134, v17, v21
	v_fma_f32 v16, v23, s0, -v16
	v_sub_f32_e32 v17, v3, v49
	v_fmac_f32_e32 v25, 0xbf788fa5, v23
	v_add_f32_e32 v129, v24, v58
	v_add_f32_e32 v135, v16, v20
	;; [unrolled: 1-line block ×3, first 2 shown]
	v_sub_f32_e32 v16, v2, v48
	v_mul_f32_e32 v44, 0xbeedf032, v17
	v_mul_f32_e32 v20, 0xbf52af12, v17
	;; [unrolled: 1-line block ×6, first 2 shown]
	v_add_f32_e32 v79, v25, v30
	v_mul_f32_e32 v45, 0xbeedf032, v16
	v_mul_f32_e32 v22, 0xbf52af12, v16
	;; [unrolled: 1-line block ×5, first 2 shown]
	v_fma_f32 v57, v46, s13, -v17
	v_mul_f32_e32 v16, 0xbe750f2a, v16
	v_add_f32_e32 v47, v49, v3
	v_add_f32_e32 v61, v57, v0
	v_mov_b32_e32 v57, v16
	v_fmac_f32_e32 v18, 0x3df6dbef, v23
	v_fmac_f32_e32 v57, 0xbf788fa5, v47
	v_sub_f32_e32 v65, v13, v39
	v_add_f32_e32 v133, v18, v63
	v_mov_b32_e32 v18, v44
	v_add_f32_e32 v63, v57, v1
	v_mul_f32_e32 v57, 0xbf52af12, v65
	v_fmac_f32_e32 v18, 0x3f62ad3f, v46
	v_add_f32_e32 v59, v38, v12
	v_sub_f32_e32 v64, v12, v38
	v_mov_b32_e32 v66, v57
	v_add_f32_e32 v18, v18, v0
	v_fma_f32 v19, v47, s4, -v45
	v_add_f32_e32 v60, v39, v13
	v_mul_f32_e32 v58, 0xbf52af12, v64
	v_fmac_f32_e32 v66, 0x3f116cb1, v59
	v_add_f32_e32 v19, v19, v1
	v_add_f32_e32 v18, v66, v18
	v_fma_f32 v66, v60, s1, -v58
	v_fma_f32 v21, v46, s1, -v20
	v_add_f32_e32 v19, v66, v19
	v_mul_f32_e32 v66, 0xbf6f5d39, v65
	v_add_f32_e32 v21, v21, v0
	v_fmac_f32_e32 v20, 0x3f116cb1, v46
	v_fma_f32 v67, v59, s5, -v66
	v_mov_b32_e32 v23, v22
	v_add_f32_e32 v20, v20, v0
	v_fma_f32 v22, v47, s1, -v22
	v_add_f32_e32 v21, v67, v21
	v_mul_f32_e32 v67, 0xbf6f5d39, v64
	v_fmac_f32_e32 v66, 0xbeb58ec6, v59
	v_add_f32_e32 v22, v22, v1
	v_add_f32_e32 v20, v66, v20
	v_fma_f32 v66, v60, s5, -v67
	v_fma_f32 v25, v46, s0, -v24
	v_add_f32_e32 v22, v66, v22
	v_mul_f32_e32 v66, 0xbe750f2a, v65
	v_add_f32_e32 v25, v25, v0
	v_fmac_f32_e32 v24, 0x3df6dbef, v46
	v_mov_b32_e32 v68, v67
	v_fma_f32 v67, v59, s13, -v66
	v_mov_b32_e32 v27, v26
	v_add_f32_e32 v24, v24, v0
	v_fma_f32 v26, v47, s0, -v26
	v_add_f32_e32 v25, v67, v25
	v_mul_f32_e32 v67, 0xbe750f2a, v64
	v_fmac_f32_e32 v66, 0xbf788fa5, v59
	v_fmac_f32_e32 v23, 0x3f116cb1, v47
	v_add_f32_e32 v26, v26, v1
	v_add_f32_e32 v24, v66, v24
	v_fma_f32 v66, v60, s13, -v67
	v_add_f32_e32 v23, v23, v1
	v_fma_f32 v29, v46, s5, -v28
	v_fmac_f32_e32 v68, 0xbeb58ec6, v60
	v_add_f32_e32 v26, v66, v26
	v_mul_f32_e32 v66, 0x3f29c268, v65
	v_add_f32_e32 v29, v29, v0
	v_fmac_f32_e32 v28, 0xbeb58ec6, v46
	v_add_f32_e32 v23, v68, v23
	v_mov_b32_e32 v68, v67
	v_fma_f32 v67, v59, s12, -v66
	v_mov_b32_e32 v31, v30
	v_add_f32_e32 v28, v28, v0
	v_fma_f32 v30, v47, s5, -v30
	v_add_f32_e32 v29, v67, v29
	v_mul_f32_e32 v67, 0x3f29c268, v64
	v_fmac_f32_e32 v66, 0xbf3f9e67, v59
	v_fmac_f32_e32 v27, 0x3df6dbef, v47
	v_add_f32_e32 v30, v30, v1
	v_add_f32_e32 v28, v66, v28
	v_fma_f32 v66, v60, s12, -v67
	v_add_f32_e32 v27, v27, v1
	v_fma_f32 v53, v46, s12, -v52
	v_fmac_f32_e32 v68, 0xbf788fa5, v60
	v_add_f32_e32 v30, v66, v30
	v_mul_f32_e32 v66, 0x3f7e222b, v65
	v_add_f32_e32 v53, v53, v0
	v_fmac_f32_e32 v52, 0xbf3f9e67, v46
	v_add_f32_e32 v27, v68, v27
	v_mov_b32_e32 v68, v67
	v_fma_f32 v67, v59, s0, -v66
	v_mov_b32_e32 v55, v54
	v_add_f32_e32 v52, v52, v0
	v_fma_f32 v54, v47, s12, -v54
	v_add_f32_e32 v53, v67, v53
	v_mul_f32_e32 v67, 0x3f7e222b, v64
	v_fmac_f32_e32 v66, 0x3df6dbef, v59
	v_add_f32_e32 v54, v54, v1
	v_add_f32_e32 v52, v66, v52
	v_fma_f32 v66, v60, s0, -v67
	v_mul_f32_e32 v65, 0x3eedf032, v65
	v_fmac_f32_e32 v31, 0xbeb58ec6, v47
	v_add_f32_e32 v54, v66, v54
	v_fma_f32 v66, v59, s4, -v65
	v_add_f32_e32 v31, v31, v1
	v_fma_f32 v16, v47, s13, -v16
	v_fmac_f32_e32 v68, 0xbf3f9e67, v60
	v_add_f32_e32 v66, v66, v61
	v_mul_f32_e32 v61, 0x3eedf032, v64
	v_fmac_f32_e32 v55, 0xbf3f9e67, v47
	v_add_f32_e32 v16, v16, v1
	v_add_f32_e32 v31, v68, v31
	v_mov_b32_e32 v68, v67
	v_mov_b32_e32 v64, v61
	v_fma_f32 v61, v60, s4, -v61
	v_sub_f32_e32 v69, v15, v37
	v_add_f32_e32 v55, v55, v1
	v_fmac_f32_e32 v17, 0xbf788fa5, v46
	v_fmac_f32_e32 v68, 0x3df6dbef, v60
	;; [unrolled: 1-line block ×3, first 2 shown]
	v_add_f32_e32 v16, v61, v16
	v_mul_f32_e32 v61, 0xbf7e222b, v69
	v_add_f32_e32 v17, v17, v0
	v_add_f32_e32 v55, v68, v55
	;; [unrolled: 1-line block ×3, first 2 shown]
	v_fmac_f32_e32 v65, 0x3f62ad3f, v59
	v_add_f32_e32 v64, v36, v14
	v_sub_f32_e32 v68, v14, v36
	v_mov_b32_e32 v70, v61
	v_add_f32_e32 v17, v65, v17
	v_add_f32_e32 v65, v37, v15
	v_mul_f32_e32 v63, 0xbf7e222b, v68
	v_fmac_f32_e32 v70, 0x3df6dbef, v64
	v_add_f32_e32 v18, v70, v18
	v_fma_f32 v70, v65, s0, -v63
	v_add_f32_e32 v19, v70, v19
	v_mul_f32_e32 v70, 0xbe750f2a, v69
	v_fma_f32 v71, v64, s13, -v70
	v_add_f32_e32 v21, v71, v21
	v_mul_f32_e32 v71, 0xbe750f2a, v68
	v_fmac_f32_e32 v70, 0xbf788fa5, v64
	v_add_f32_e32 v20, v70, v20
	v_fma_f32 v70, v65, s13, -v71
	v_add_f32_e32 v22, v70, v22
	v_mul_f32_e32 v70, 0x3f6f5d39, v69
	v_mov_b32_e32 v72, v71
	v_fma_f32 v71, v64, s5, -v70
	v_add_f32_e32 v25, v71, v25
	v_mul_f32_e32 v71, 0x3f6f5d39, v68
	v_fmac_f32_e32 v70, 0xbeb58ec6, v64
	v_add_f32_e32 v24, v70, v24
	v_fma_f32 v70, v65, s5, -v71
	v_fmac_f32_e32 v72, 0xbf788fa5, v65
	v_add_f32_e32 v26, v70, v26
	v_mul_f32_e32 v70, 0x3eedf032, v69
	v_add_f32_e32 v23, v72, v23
	v_mov_b32_e32 v72, v71
	v_fma_f32 v71, v64, s4, -v70
	v_add_f32_e32 v29, v71, v29
	v_mul_f32_e32 v71, 0x3eedf032, v68
	v_fmac_f32_e32 v70, 0x3f62ad3f, v64
	v_add_f32_e32 v28, v70, v28
	v_fma_f32 v70, v65, s4, -v71
	v_fmac_f32_e32 v72, 0xbeb58ec6, v65
	v_add_f32_e32 v30, v70, v30
	v_mul_f32_e32 v70, 0xbf52af12, v69
	v_add_f32_e32 v27, v72, v27
	v_mov_b32_e32 v72, v71
	v_fma_f32 v71, v64, s1, -v70
	v_add_f32_e32 v53, v71, v53
	v_mul_f32_e32 v71, 0xbf52af12, v68
	v_fmac_f32_e32 v70, 0x3f116cb1, v64
	v_add_f32_e32 v52, v70, v52
	v_fma_f32 v70, v65, s1, -v71
	v_mul_f32_e32 v69, 0xbf29c268, v69
	v_add_f32_e32 v54, v70, v54
	v_fma_f32 v70, v64, s12, -v69
	v_fmac_f32_e32 v72, 0x3f62ad3f, v65
	v_add_f32_e32 v70, v70, v66
	v_mul_f32_e32 v66, 0xbf29c268, v68
	v_add_f32_e32 v31, v72, v31
	v_mov_b32_e32 v72, v71
	v_mov_b32_e32 v68, v66
	v_fma_f32 v66, v65, s12, -v66
	v_sub_f32_e32 v73, v33, v11
	v_fmac_f32_e32 v72, 0x3f116cb1, v65
	v_fmac_f32_e32 v68, 0xbf3f9e67, v65
	v_add_f32_e32 v16, v66, v16
	v_mul_f32_e32 v66, 0xbf6f5d39, v73
	v_add_f32_e32 v55, v72, v55
	v_add_f32_e32 v71, v68, v67
	v_fmac_f32_e32 v69, 0xbf3f9e67, v64
	v_add_f32_e32 v68, v10, v32
	v_sub_f32_e32 v72, v32, v10
	v_mov_b32_e32 v74, v66
	v_add_f32_e32 v17, v69, v17
	v_add_f32_e32 v69, v11, v33
	v_mul_f32_e32 v67, 0xbf6f5d39, v72
	v_fmac_f32_e32 v74, 0xbeb58ec6, v68
	v_add_f32_e32 v18, v74, v18
	v_fma_f32 v74, v69, s5, -v67
	v_add_f32_e32 v19, v74, v19
	v_mul_f32_e32 v74, 0x3f29c268, v73
	v_fma_f32 v75, v68, s12, -v74
	v_add_f32_e32 v21, v75, v21
	v_mul_f32_e32 v75, 0x3f29c268, v72
	v_fmac_f32_e32 v74, 0xbf3f9e67, v68
	v_add_f32_e32 v20, v74, v20
	v_fma_f32 v74, v69, s12, -v75
	v_add_f32_e32 v22, v74, v22
	v_mul_f32_e32 v74, 0x3eedf032, v73
	v_mov_b32_e32 v76, v75
	v_fma_f32 v75, v68, s4, -v74
	v_add_f32_e32 v25, v75, v25
	v_mul_f32_e32 v75, 0x3eedf032, v72
	v_fmac_f32_e32 v74, 0x3f62ad3f, v68
	v_add_f32_e32 v24, v74, v24
	v_fma_f32 v74, v69, s4, -v75
	v_fmac_f32_e32 v76, 0xbf3f9e67, v69
	v_add_f32_e32 v26, v74, v26
	v_mul_f32_e32 v74, 0xbf7e222b, v73
	v_add_f32_e32 v23, v76, v23
	v_mov_b32_e32 v76, v75
	v_fma_f32 v75, v68, s0, -v74
	v_add_f32_e32 v29, v75, v29
	v_mul_f32_e32 v75, 0xbf7e222b, v72
	v_fmac_f32_e32 v74, 0x3df6dbef, v68
	v_add_f32_e32 v28, v74, v28
	v_fma_f32 v74, v69, s0, -v75
	v_fmac_f32_e32 v76, 0x3f62ad3f, v69
	v_add_f32_e32 v30, v74, v30
	v_mul_f32_e32 v74, 0x3e750f2a, v73
	v_add_f32_e32 v27, v76, v27
	v_mov_b32_e32 v76, v75
	v_fma_f32 v75, v68, s13, -v74
	v_add_f32_e32 v53, v75, v53
	v_mul_f32_e32 v75, 0x3e750f2a, v72
	v_fmac_f32_e32 v74, 0xbf788fa5, v68
	v_add_f32_e32 v52, v74, v52
	v_fma_f32 v74, v69, s13, -v75
	v_mul_f32_e32 v73, 0x3f52af12, v73
	v_add_f32_e32 v54, v74, v54
	v_fma_f32 v74, v68, s1, -v73
	v_fmac_f32_e32 v76, 0x3df6dbef, v69
	v_add_f32_e32 v74, v74, v70
	v_mul_f32_e32 v70, 0x3f52af12, v72
	v_add_f32_e32 v31, v76, v31
	v_mov_b32_e32 v76, v75
	v_mov_b32_e32 v72, v70
	v_fma_f32 v70, v69, s1, -v70
	v_sub_f32_e32 v77, v35, v9
	v_fmac_f32_e32 v76, 0xbf788fa5, v69
	v_fmac_f32_e32 v72, 0x3f116cb1, v69
	v_add_f32_e32 v16, v70, v16
	v_mul_f32_e32 v70, 0xbf29c268, v77
	v_add_f32_e32 v55, v76, v55
	v_add_f32_e32 v75, v72, v71
	v_fmac_f32_e32 v73, 0x3f116cb1, v68
	v_add_f32_e32 v72, v8, v34
	v_sub_f32_e32 v76, v34, v8
	v_mov_b32_e32 v113, v70
	v_add_f32_e32 v17, v73, v17
	v_add_f32_e32 v73, v9, v35
	v_mul_f32_e32 v71, 0xbf29c268, v76
	v_fmac_f32_e32 v113, 0xbf3f9e67, v72
	v_add_f32_e32 v18, v113, v18
	v_fma_f32 v113, v73, s12, -v71
	v_add_f32_e32 v19, v113, v19
	v_mul_f32_e32 v113, 0x3f7e222b, v77
	v_fma_f32 v114, v72, s0, -v113
	v_add_f32_e32 v21, v114, v21
	v_mul_f32_e32 v114, 0x3f7e222b, v76
	v_mov_b32_e32 v124, v114
	v_fmac_f32_e32 v113, 0x3df6dbef, v72
	v_fmac_f32_e32 v124, 0x3df6dbef, v73
	v_add_f32_e32 v20, v113, v20
	v_fma_f32 v113, v73, s0, -v114
	v_add_f32_e32 v23, v124, v23
	v_add_f32_e32 v124, v113, v22
	v_mul_f32_e32 v22, 0xbf52af12, v77
	v_fma_f32 v113, v72, s1, -v22
	v_add_f32_e32 v25, v113, v25
	v_mul_f32_e32 v113, 0xbf52af12, v76
	v_fmac_f32_e32 v22, 0x3f116cb1, v72
	v_add_f32_e32 v24, v22, v24
	v_fma_f32 v22, v73, s1, -v113
	v_add_f32_e32 v26, v22, v26
	v_mul_f32_e32 v22, 0x3e750f2a, v77
	v_mov_b32_e32 v114, v113
	v_fma_f32 v113, v72, s13, -v22
	v_add_f32_e32 v29, v113, v29
	v_mul_f32_e32 v113, 0x3e750f2a, v76
	v_fmac_f32_e32 v22, 0xbf788fa5, v72
	v_add_f32_e32 v28, v22, v28
	v_fma_f32 v22, v73, s13, -v113
	v_add_f32_e32 v125, v22, v30
	v_mul_f32_e32 v22, 0x3eedf032, v77
	v_fma_f32 v30, v72, s4, -v22
	v_add_f32_e32 v53, v30, v53
	v_mul_f32_e32 v30, 0x3eedf032, v76
	v_fmac_f32_e32 v22, 0x3f62ad3f, v72
	v_add_f32_e32 v52, v22, v52
	v_fma_f32 v22, v73, s4, -v30
	v_fmac_f32_e32 v114, 0x3f116cb1, v73
	v_add_f32_e32 v54, v22, v54
	v_mul_f32_e32 v22, 0xbf6f5d39, v77
	v_add_f32_e32 v27, v114, v27
	v_mov_b32_e32 v114, v113
	v_mov_b32_e32 v113, v30
	v_fma_f32 v30, v72, s5, -v22
	v_add_f32_e32 v136, v30, v74
	v_mul_f32_e32 v30, 0xbf6f5d39, v76
	v_mov_b32_e32 v74, v30
	v_fmac_f32_e32 v74, 0xbeb58ec6, v73
	v_fmac_f32_e32 v22, 0xbeb58ec6, v72
	v_sub_f32_e32 v141, v5, v7
	v_add_f32_e32 v137, v74, v75
	v_add_f32_e32 v138, v22, v17
	v_fma_f32 v17, v73, s5, -v30
	v_mul_f32_e32 v74, 0xbe750f2a, v141
	v_add_f32_e32 v139, v17, v16
	v_add_f32_e32 v76, v6, v4
	v_sub_f32_e32 v140, v4, v6
	v_mov_b32_e32 v16, v74
	v_fmac_f32_e32 v113, 0x3f62ad3f, v73
	v_add_f32_e32 v77, v7, v5
	v_mul_f32_e32 v75, 0xbe750f2a, v140
	v_fmac_f32_e32 v16, 0xbf788fa5, v76
	v_fmac_f32_e32 v114, 0xbf788fa5, v73
	v_add_f32_e32 v55, v113, v55
	v_add_f32_e32 v113, v16, v18
	v_fma_f32 v16, v77, s13, -v75
	v_mul_f32_e32 v18, 0x3eedf032, v141
	v_add_f32_e32 v31, v114, v31
	v_add_f32_e32 v114, v16, v19
	v_fma_f32 v16, v76, s4, -v18
	v_mul_f32_e32 v19, 0x3eedf032, v140
	v_add_f32_e32 v16, v16, v21
	v_mov_b32_e32 v17, v19
	v_fmac_f32_e32 v18, 0x3f62ad3f, v76
	v_mul_f32_e32 v21, 0xbf29c268, v140
	v_fmac_f32_e32 v17, 0x3f62ad3f, v77
	v_add_f32_e32 v22, v18, v20
	v_fma_f32 v18, v77, s4, -v19
	v_mul_f32_e32 v20, 0xbf29c268, v141
	v_mov_b32_e32 v19, v21
	v_fma_f32 v21, v77, s12, -v21
	v_add_f32_e32 v17, v17, v23
	v_add_f32_e32 v23, v18, v124
	v_fma_f32 v18, v76, s12, -v20
	v_fmac_f32_e32 v20, 0xbf3f9e67, v76
	v_add_f32_e32 v21, v21, v26
	v_mul_f32_e32 v26, 0x3f52af12, v141
	v_fmac_f32_e32 v19, 0xbf3f9e67, v77
	v_add_f32_e32 v20, v20, v24
	v_fma_f32 v24, v76, s1, -v26
	v_add_f32_e32 v19, v19, v27
	v_add_f32_e32 v24, v24, v29
	v_mul_f32_e32 v27, 0x3f52af12, v140
	v_fmac_f32_e32 v26, 0x3f116cb1, v76
	v_mul_f32_e32 v29, 0xbf6f5d39, v140
	v_add_f32_e32 v18, v18, v25
	v_mov_b32_e32 v25, v27
	v_add_f32_e32 v30, v26, v28
	v_fma_f32 v26, v77, s1, -v27
	v_mov_b32_e32 v27, v29
	v_fmac_f32_e32 v25, 0x3f116cb1, v77
	v_mul_f32_e32 v28, 0xbf6f5d39, v141
	v_fmac_f32_e32 v27, 0xbeb58ec6, v77
	v_add_f32_e32 v25, v25, v31
	v_add_f32_e32 v31, v26, v125
	v_fma_f32 v26, v76, s5, -v28
	v_add_f32_e32 v27, v27, v55
	v_fma_f32 v29, v77, s5, -v29
	v_mul_f32_e32 v55, 0x3f7e222b, v140
	v_add_f32_e32 v26, v26, v53
	v_fmac_f32_e32 v28, 0xbeb58ec6, v76
	v_add_f32_e32 v29, v29, v54
	v_mul_f32_e32 v54, 0x3f7e222b, v141
	v_mov_b32_e32 v53, v55
	v_mul_lo_u16_e32 v124, 13, v117
	v_add_f32_e32 v28, v28, v52
	v_fma_f32 v52, v76, s0, -v54
	v_fmac_f32_e32 v53, 0x3df6dbef, v77
	v_fmac_f32_e32 v54, 0x3df6dbef, v76
	v_fma_f32 v55, v77, s0, -v55
	v_lshl_add_u32 v125, v124, 3, v121
	v_add_f32_e32 v52, v52, v136
	v_add_f32_e32 v53, v53, v137
	;; [unrolled: 1-line block ×4, first 2 shown]
	s_waitcnt lgkmcnt(0)
	; wave barrier
	ds_write2_b64 v125, v[50:51], v[78:79] offset1:1
	ds_write2_b64 v125, v[80:81], v[82:83] offset0:2 offset1:3
	ds_write2_b64 v125, v[122:123], v[128:129] offset0:4 offset1:5
	;; [unrolled: 1-line block ×5, first 2 shown]
	ds_write_b64 v125, v[40:41] offset:96
	v_mul_u32_u24_e32 v123, 13, v56
	s_and_saveexec_b64 s[0:1], vcc
	s_cbranch_execz .LBB0_7
; %bb.6:
	v_mul_f32_e32 v40, 0x3f62ad3f, v46
	v_mul_f32_e32 v41, 0x3f62ad3f, v47
	v_add_f32_e32 v41, v45, v41
	v_sub_f32_e32 v40, v40, v44
	v_add_f32_e32 v41, v41, v1
	v_add_f32_e32 v40, v40, v0
	;; [unrolled: 1-line block ×12, first 2 shown]
	v_mul_f32_e32 v42, 0x3f116cb1, v59
	v_mul_f32_e32 v43, 0x3f116cb1, v60
	v_add_f32_e32 v1, v5, v1
	v_add_f32_e32 v0, v4, v0
	v_mul_f32_e32 v46, 0x3df6dbef, v64
	v_mul_f32_e32 v47, 0x3df6dbef, v65
	v_add_f32_e32 v43, v58, v43
	v_sub_f32_e32 v42, v42, v57
	v_add_f32_e32 v1, v7, v1
	v_add_f32_e32 v0, v6, v0
	v_mul_f32_e32 v50, 0xbeb58ec6, v68
	v_mul_f32_e32 v51, 0xbeb58ec6, v69
	v_add_f32_e32 v41, v43, v41
	v_add_f32_e32 v43, v63, v47
	v_add_f32_e32 v40, v42, v40
	v_sub_f32_e32 v42, v46, v61
	v_add_f32_e32 v1, v9, v1
	v_add_f32_e32 v0, v8, v0
	v_mul_f32_e32 v59, 0xbf3f9e67, v72
	v_mul_f32_e32 v60, 0xbf3f9e67, v73
	v_add_f32_e32 v41, v43, v41
	v_add_f32_e32 v43, v67, v51
	;; [unrolled: 8-line block ×3, first 2 shown]
	v_add_f32_e32 v40, v42, v40
	v_sub_f32_e32 v42, v59, v70
	v_add_f32_e32 v1, v37, v1
	v_add_f32_e32 v0, v36, v0
	;; [unrolled: 1-line block ×5, first 2 shown]
	v_sub_f32_e32 v42, v64, v74
	v_add_f32_e32 v1, v39, v1
	v_add_f32_e32 v0, v38, v0
	;; [unrolled: 1-line block ×6, first 2 shown]
	v_lshl_add_u32 v2, v123, 3, v121
	ds_write2_b64 v2, v[0:1], v[40:41] offset1:1
	ds_write2_b64 v2, v[16:17], v[18:19] offset0:2 offset1:3
	ds_write2_b64 v2, v[24:25], v[26:27] offset0:4 offset1:5
	;; [unrolled: 1-line block ×5, first 2 shown]
	ds_write_b64 v2, v[113:114] offset:96
.LBB0_7:
	s_or_b64 exec, exec, s[0:1]
	v_add_co_u32_e64 v69, s[0:1], 26, v117
	s_movk_i32 s0, 0x4f
	v_mul_lo_u16_sdwa v8, v69, s0 dst_sel:DWORD dst_unused:UNUSED_PAD src0_sel:BYTE_0 src1_sel:DWORD
	v_lshlrev_b32_e32 v61, 5, v117
	v_lshrrev_b16_e32 v8, 10, v8
	s_waitcnt lgkmcnt(0)
	; wave barrier
	s_waitcnt lgkmcnt(0)
	global_load_dwordx4 v[4:7], v61, s[2:3]
	global_load_dwordx4 v[0:3], v61, s[2:3] offset:16
	v_mul_lo_u16_e32 v8, 13, v8
	v_sub_u16_e32 v70, v69, v8
	v_lshlrev_b16_e32 v8, 2, v70
	v_and_b32_e32 v8, 0xfc, v8
	v_lshlrev_b32_e32 v32, 3, v8
	global_load_dwordx4 v[12:15], v32, s[2:3]
	global_load_dwordx4 v[8:11], v32, s[2:3] offset:16
	ds_read2_b64 v[32:35], v118 offset1:13
	ds_read2_b64 v[36:39], v118 offset0:26 offset1:39
	ds_read2_b64 v[40:43], v118 offset0:78 offset1:91
	;; [unrolled: 1-line block ×6, first 2 shown]
	ds_read_b64 v[67:68], v118 offset:1456
	v_mov_b32_e32 v72, s3
	v_add_co_u32_e64 v61, s[0:1], s2, v61
	v_lshlrev_b32_e32 v71, 4, v117
	v_addc_co_u32_e64 v72, s[0:1], 0, v72, s[0:1]
	s_waitcnt lgkmcnt(0)
	; wave barrier
	s_waitcnt vmcnt(3) lgkmcnt(0)
	v_mul_f32_e32 v73, v39, v5
	v_mul_f32_e32 v75, v41, v7
	s_waitcnt vmcnt(2)
	v_mul_f32_e32 v77, v47, v1
	v_fma_f32 v73, v38, v4, -v73
	v_mul_f32_e32 v74, v38, v5
	v_mul_f32_e32 v78, v46, v1
	v_fma_f32 v75, v40, v6, -v75
	v_fma_f32 v46, v46, v0, -v77
	v_add_f32_e32 v38, v32, v73
	v_mul_f32_e32 v76, v40, v7
	v_mul_f32_e32 v79, v49, v3
	;; [unrolled: 1-line block ×3, first 2 shown]
	v_fmac_f32_e32 v74, v39, v4
	v_add_f32_e32 v39, v75, v46
	v_add_f32_e32 v40, v38, v75
	v_mul_f32_e32 v82, v57, v5
	v_mul_f32_e32 v83, v43, v7
	;; [unrolled: 1-line block ×3, first 2 shown]
	v_fmac_f32_e32 v76, v41, v6
	v_fma_f32 v41, v48, v2, -v79
	v_fmac_f32_e32 v80, v49, v2
	v_fma_f32 v38, -0.5, v39, v32
	v_add_f32_e32 v39, v40, v46
	v_mul_f32_e32 v81, v58, v5
	v_mul_f32_e32 v122, v63, v1
	;; [unrolled: 1-line block ×3, first 2 shown]
	v_fmac_f32_e32 v78, v47, v0
	v_fmac_f32_e32 v82, v58, v4
	v_fma_f32 v58, v42, v6, -v83
	v_fmac_f32_e32 v115, v43, v6
	v_sub_f32_e32 v43, v74, v80
	v_mov_b32_e32 v40, v38
	v_add_f32_e32 v42, v39, v41
	s_waitcnt vmcnt(1)
	v_mul_f32_e32 v39, v60, v13
	v_mul_f32_e32 v48, v45, v15
	;; [unrolled: 1-line block ×3, first 2 shown]
	v_fma_f32 v77, v57, v4, -v81
	v_fmac_f32_e32 v122, v64, v0
	v_fma_f32 v64, v50, v2, -v124
	v_sub_f32_e32 v47, v76, v78
	v_fmac_f32_e32 v40, 0x3f737871, v43
	v_mul_f32_e32 v81, v44, v15
	v_fma_f32 v124, v59, v12, -v39
	v_fma_f32 v127, v44, v14, -v48
	v_sub_f32_e32 v39, v73, v75
	v_sub_f32_e32 v44, v41, v46
	v_fmac_f32_e32 v38, 0xbf737871, v43
	v_fmac_f32_e32 v40, 0x3f167918, v47
	v_add_f32_e32 v39, v39, v44
	v_fmac_f32_e32 v38, 0xbf167918, v47
	v_fmac_f32_e32 v40, 0x3e9e377a, v39
	;; [unrolled: 1-line block ×3, first 2 shown]
	v_add_f32_e32 v39, v73, v41
	v_fma_f32 v32, -0.5, v39, v32
	v_mov_b32_e32 v44, v32
	v_fmac_f32_e32 v81, v45, v14
	v_fmac_f32_e32 v44, 0xbf737871, v47
	v_sub_f32_e32 v39, v75, v73
	v_sub_f32_e32 v45, v46, v41
	v_fmac_f32_e32 v32, 0x3f737871, v47
	v_fmac_f32_e32 v44, 0x3f167918, v43
	v_add_f32_e32 v39, v39, v45
	v_fmac_f32_e32 v32, 0xbf167918, v43
	v_fmac_f32_e32 v44, 0x3e9e377a, v39
	;; [unrolled: 1-line block ×3, first 2 shown]
	v_add_f32_e32 v39, v33, v74
	v_add_f32_e32 v39, v39, v76
	;; [unrolled: 1-line block ×5, first 2 shown]
	v_fma_f32 v39, -0.5, v39, v33
	v_sub_f32_e32 v47, v73, v41
	v_mov_b32_e32 v41, v39
	v_fmac_f32_e32 v41, 0xbf737871, v47
	v_sub_f32_e32 v46, v75, v46
	v_sub_f32_e32 v45, v74, v76
	;; [unrolled: 1-line block ×3, first 2 shown]
	v_fmac_f32_e32 v39, 0x3f737871, v47
	v_fmac_f32_e32 v41, 0xbf167918, v46
	v_add_f32_e32 v45, v45, v48
	v_fmac_f32_e32 v39, 0x3f167918, v46
	v_fmac_f32_e32 v41, 0x3e9e377a, v45
	;; [unrolled: 1-line block ×3, first 2 shown]
	v_add_f32_e32 v45, v74, v80
	v_fma_f32 v33, -0.5, v45, v33
	s_waitcnt vmcnt(0)
	v_mul_f32_e32 v49, v66, v9
	v_mov_b32_e32 v45, v33
	v_fma_f32 v63, v63, v0, -v116
	v_fma_f32 v128, v65, v8, -v49
	v_fmac_f32_e32 v45, 0x3f737871, v46
	v_sub_f32_e32 v48, v76, v74
	v_sub_f32_e32 v49, v78, v80
	v_fmac_f32_e32 v33, 0xbf737871, v46
	v_mul_f32_e32 v126, v50, v3
	v_fmac_f32_e32 v45, 0xbf167918, v47
	v_add_f32_e32 v48, v48, v49
	v_fmac_f32_e32 v33, 0x3f167918, v47
	v_add_f32_e32 v47, v58, v63
	v_fmac_f32_e32 v126, v51, v2
	v_mul_f32_e32 v83, v65, v9
	v_mul_f32_e32 v50, v68, v11
	v_fmac_f32_e32 v45, 0x3e9e377a, v48
	v_fmac_f32_e32 v33, 0x3e9e377a, v48
	v_fma_f32 v48, -0.5, v47, v34
	v_fmac_f32_e32 v83, v66, v8
	v_fma_f32 v66, v67, v10, -v50
	v_sub_f32_e32 v47, v82, v126
	v_mov_b32_e32 v50, v48
	v_fmac_f32_e32 v50, 0x3f737871, v47
	v_sub_f32_e32 v49, v115, v122
	v_sub_f32_e32 v51, v77, v58
	;; [unrolled: 1-line block ×3, first 2 shown]
	v_fmac_f32_e32 v48, 0xbf737871, v47
	v_fmac_f32_e32 v50, 0x3f167918, v49
	v_add_f32_e32 v51, v51, v57
	v_fmac_f32_e32 v48, 0xbf167918, v49
	v_fmac_f32_e32 v50, 0x3e9e377a, v51
	;; [unrolled: 1-line block ×3, first 2 shown]
	v_add_f32_e32 v51, v77, v64
	v_add_f32_e32 v46, v34, v77
	v_fma_f32 v34, -0.5, v51, v34
	v_mov_b32_e32 v57, v34
	v_mul_f32_e32 v79, v59, v13
	v_fmac_f32_e32 v57, 0xbf737871, v49
	v_sub_f32_e32 v51, v58, v77
	v_sub_f32_e32 v59, v63, v64
	v_fmac_f32_e32 v34, 0x3f737871, v49
	v_add_f32_e32 v49, v115, v122
	v_fmac_f32_e32 v57, 0x3f167918, v47
	v_add_f32_e32 v51, v51, v59
	v_fmac_f32_e32 v34, 0xbf167918, v47
	v_fma_f32 v49, -0.5, v49, v35
	v_add_f32_e32 v46, v46, v58
	v_fmac_f32_e32 v57, 0x3e9e377a, v51
	v_fmac_f32_e32 v34, 0x3e9e377a, v51
	v_sub_f32_e32 v59, v77, v64
	v_mov_b32_e32 v51, v49
	v_fmac_f32_e32 v79, v60, v12
	v_add_f32_e32 v46, v46, v63
	v_fmac_f32_e32 v51, 0xbf737871, v59
	v_sub_f32_e32 v60, v58, v63
	v_sub_f32_e32 v58, v82, v115
	;; [unrolled: 1-line block ×3, first 2 shown]
	v_fmac_f32_e32 v49, 0x3f737871, v59
	v_fmac_f32_e32 v51, 0xbf167918, v60
	v_add_f32_e32 v58, v58, v63
	v_fmac_f32_e32 v49, 0x3f167918, v60
	v_fmac_f32_e32 v51, 0x3e9e377a, v58
	;; [unrolled: 1-line block ×3, first 2 shown]
	v_add_f32_e32 v58, v82, v126
	v_add_f32_e32 v47, v35, v82
	v_fmac_f32_e32 v35, -0.5, v58
	v_mov_b32_e32 v58, v35
	v_add_f32_e32 v46, v46, v64
	v_fmac_f32_e32 v58, 0x3f737871, v60
	v_sub_f32_e32 v63, v115, v82
	v_sub_f32_e32 v64, v122, v126
	v_fmac_f32_e32 v35, 0xbf737871, v60
	v_mul_f32_e32 v116, v67, v11
	v_fmac_f32_e32 v58, 0xbf167918, v59
	v_add_f32_e32 v63, v63, v64
	v_fmac_f32_e32 v35, 0x3f167918, v59
	v_add_f32_e32 v60, v127, v128
	v_fmac_f32_e32 v116, v68, v10
	v_fmac_f32_e32 v58, 0x3e9e377a, v63
	;; [unrolled: 1-line block ×3, first 2 shown]
	v_fma_f32 v63, -0.5, v60, v36
	v_sub_f32_e32 v60, v79, v116
	v_mov_b32_e32 v65, v63
	v_fmac_f32_e32 v65, 0x3f737871, v60
	v_sub_f32_e32 v64, v81, v83
	v_sub_f32_e32 v67, v124, v127
	;; [unrolled: 1-line block ×3, first 2 shown]
	v_fmac_f32_e32 v63, 0xbf737871, v60
	v_fmac_f32_e32 v65, 0x3f167918, v64
	v_add_f32_e32 v67, v67, v68
	v_fmac_f32_e32 v63, 0xbf167918, v64
	v_fmac_f32_e32 v65, 0x3e9e377a, v67
	;; [unrolled: 1-line block ×3, first 2 shown]
	v_add_f32_e32 v67, v124, v66
	v_add_f32_e32 v59, v36, v124
	v_fma_f32 v36, -0.5, v67, v36
	v_mov_b32_e32 v67, v36
	v_add_f32_e32 v59, v59, v127
	v_fmac_f32_e32 v67, 0xbf737871, v64
	v_fmac_f32_e32 v36, 0x3f737871, v64
	v_add_f32_e32 v64, v81, v83
	v_add_f32_e32 v59, v59, v128
	v_sub_f32_e32 v68, v127, v124
	v_sub_f32_e32 v73, v128, v66
	v_fma_f32 v64, -0.5, v64, v37
	v_add_f32_e32 v59, v59, v66
	v_fmac_f32_e32 v67, 0x3f167918, v60
	v_add_f32_e32 v68, v68, v73
	v_fmac_f32_e32 v36, 0xbf167918, v60
	v_sub_f32_e32 v73, v124, v66
	v_mov_b32_e32 v66, v64
	v_fmac_f32_e32 v67, 0x3e9e377a, v68
	v_fmac_f32_e32 v36, 0x3e9e377a, v68
	;; [unrolled: 1-line block ×3, first 2 shown]
	v_sub_f32_e32 v74, v127, v128
	v_sub_f32_e32 v68, v79, v81
	;; [unrolled: 1-line block ×3, first 2 shown]
	v_fmac_f32_e32 v64, 0x3f737871, v73
	v_fmac_f32_e32 v66, 0xbf167918, v74
	v_add_f32_e32 v68, v68, v75
	v_fmac_f32_e32 v64, 0x3f167918, v74
	v_add_f32_e32 v47, v47, v115
	v_fmac_f32_e32 v66, 0x3e9e377a, v68
	v_fmac_f32_e32 v64, 0x3e9e377a, v68
	v_add_f32_e32 v68, v79, v116
	v_add_f32_e32 v47, v47, v122
	;; [unrolled: 1-line block ×3, first 2 shown]
	v_fmac_f32_e32 v37, -0.5, v68
	v_add_f32_e32 v47, v47, v126
	v_add_f32_e32 v60, v60, v81
	v_mov_b32_e32 v68, v37
	ds_write2_b64 v118, v[42:43], v[40:41] offset1:13
	ds_write2_b64 v118, v[44:45], v[32:33] offset0:26 offset1:39
	ds_write2_b64 v118, v[38:39], v[46:47] offset0:52 offset1:65
	;; [unrolled: 1-line block ×4, first 2 shown]
	v_and_b32_e32 v32, 0xff, v70
	v_add_f32_e32 v60, v60, v83
	v_fmac_f32_e32 v68, 0x3f737871, v74
	v_sub_f32_e32 v75, v81, v79
	v_sub_f32_e32 v76, v83, v116
	v_fmac_f32_e32 v37, 0xbf737871, v74
	v_lshl_add_u32 v124, v32, 3, v121
	v_sub_co_u32_e64 v32, s[0:1], v61, v71
	v_add_f32_e32 v60, v60, v116
	v_fmac_f32_e32 v68, 0xbf167918, v73
	v_add_f32_e32 v75, v75, v76
	v_fmac_f32_e32 v37, 0x3f167918, v73
	v_subbrev_co_u32_e64 v33, s[0:1], 0, v72, s[0:1]
	v_fmac_f32_e32 v68, 0x3e9e377a, v75
	v_fmac_f32_e32 v37, 0x3e9e377a, v75
	ds_write2_b64 v124, v[59:60], v[65:66] offset0:130 offset1:143
	ds_write2_b64 v124, v[67:68], v[36:37] offset0:156 offset1:169
	ds_write_b64 v124, v[63:64] offset:1456
	s_waitcnt lgkmcnt(0)
	; wave barrier
	s_waitcnt lgkmcnt(0)
	global_load_dwordx4 v[32:35], v[32:33], off offset:416
	v_lshlrev_b32_e32 v36, 4, v56
	global_load_dwordx4 v[36:39], v36, s[2:3] offset:416
	v_lshlrev_b32_e32 v40, 4, v69
	global_load_dwordx4 v[40:43], v40, s[2:3] offset:416
	v_add_u32_e32 v44, 0x270, v71
	global_load_dwordx4 v[44:47], v44, s[2:3] offset:416
	v_add_u32_e32 v48, 0x340, v71
	global_load_dwordx4 v[48:51], v48, s[2:3] offset:416
	ds_read2_b64 v[63:66], v118 offset1:13
	ds_read2_b64 v[58:61], v118 offset0:52 offset1:65
	ds_read2_b64 v[67:70], v118 offset0:130 offset1:143
	;; [unrolled: 1-line block ×6, first 2 shown]
	ds_read_b64 v[56:57], v118 offset:1456
	s_add_u32 s0, s14, 0x618
	s_addc_u32 s1, s15, 0
	s_waitcnt vmcnt(4) lgkmcnt(6)
	v_mul_f32_e32 v83, v61, v33
	v_fma_f32 v83, v60, v32, -v83
	v_mul_f32_e32 v115, v60, v33
	s_waitcnt lgkmcnt(5)
	v_mul_f32_e32 v60, v68, v35
	v_fma_f32 v116, v67, v34, -v60
	s_waitcnt vmcnt(3) lgkmcnt(4)
	v_mul_f32_e32 v60, v72, v37
	v_fma_f32 v130, v71, v36, -v60
	v_mul_f32_e32 v131, v71, v37
	v_mul_f32_e32 v60, v70, v39
	v_fmac_f32_e32 v131, v72, v36
	v_fma_f32 v72, v69, v38, -v60
	s_waitcnt vmcnt(2)
	v_mul_f32_e32 v60, v74, v41
	v_fma_f32 v133, v73, v40, -v60
	s_waitcnt lgkmcnt(2)
	v_mul_f32_e32 v60, v80, v43
	v_fma_f32 v135, v79, v42, -v60
	s_waitcnt vmcnt(1) lgkmcnt(1)
	v_mul_f32_e32 v60, v127, v45
	v_fma_f32 v137, v126, v44, -v60
	v_mul_f32_e32 v126, v126, v45
	v_mul_f32_e32 v60, v82, v47
	v_fmac_f32_e32 v126, v127, v44
	v_fma_f32 v127, v81, v46, -v60
	s_waitcnt vmcnt(0)
	v_mul_f32_e32 v60, v129, v49
	v_fma_f32 v139, v128, v48, -v60
	v_mul_f32_e32 v128, v128, v49
	s_waitcnt lgkmcnt(0)
	v_mul_f32_e32 v60, v57, v51
	v_fmac_f32_e32 v128, v129, v48
	v_fma_f32 v129, v56, v50, -v60
	v_mul_f32_e32 v140, v56, v51
	v_add_f32_e32 v56, v63, v83
	v_mul_f32_e32 v122, v67, v35
	v_add_f32_e32 v60, v56, v116
	v_add_f32_e32 v56, v83, v116
	v_fmac_f32_e32 v115, v61, v32
	v_fmac_f32_e32 v122, v68, v34
	v_fma_f32 v63, -0.5, v56, v63
	v_sub_f32_e32 v56, v115, v122
	v_mov_b32_e32 v67, v63
	v_fmac_f32_e32 v67, 0x3f5db3d7, v56
	v_fmac_f32_e32 v63, 0xbf5db3d7, v56
	v_add_f32_e32 v56, v64, v115
	v_add_f32_e32 v61, v56, v122
	;; [unrolled: 1-line block ×3, first 2 shown]
	v_fma_f32 v64, -0.5, v56, v64
	v_sub_f32_e32 v56, v83, v116
	v_mov_b32_e32 v68, v64
	v_fmac_f32_e32 v68, 0xbf5db3d7, v56
	v_fmac_f32_e32 v64, 0x3f5db3d7, v56
	v_add_f32_e32 v56, v65, v130
	v_mul_f32_e32 v132, v69, v39
	v_add_f32_e32 v69, v56, v72
	v_add_f32_e32 v56, v130, v72
	v_fmac_f32_e32 v132, v70, v38
	v_fma_f32 v65, -0.5, v56, v65
	v_sub_f32_e32 v56, v131, v132
	v_mov_b32_e32 v71, v65
	v_fmac_f32_e32 v71, 0x3f5db3d7, v56
	v_fmac_f32_e32 v65, 0xbf5db3d7, v56
	v_add_f32_e32 v56, v66, v131
	v_add_f32_e32 v70, v56, v132
	;; [unrolled: 1-line block ×3, first 2 shown]
	v_fmac_f32_e32 v66, -0.5, v56
	v_sub_f32_e32 v56, v130, v72
	v_mov_b32_e32 v72, v66
	v_fmac_f32_e32 v72, 0xbf5db3d7, v56
	v_fmac_f32_e32 v66, 0x3f5db3d7, v56
	v_add_f32_e32 v56, v75, v133
	v_mul_f32_e32 v134, v73, v41
	v_mul_f32_e32 v136, v79, v43
	v_add_f32_e32 v73, v56, v135
	v_add_f32_e32 v56, v133, v135
	v_fmac_f32_e32 v134, v74, v40
	v_fmac_f32_e32 v136, v80, v42
	v_fma_f32 v75, -0.5, v56, v75
	v_sub_f32_e32 v56, v134, v136
	v_mov_b32_e32 v79, v75
	v_fmac_f32_e32 v79, 0x3f5db3d7, v56
	v_fmac_f32_e32 v75, 0xbf5db3d7, v56
	v_add_f32_e32 v56, v76, v134
	v_add_f32_e32 v74, v56, v136
	v_add_f32_e32 v56, v134, v136
	v_fma_f32 v76, -0.5, v56, v76
	v_sub_f32_e32 v56, v133, v135
	v_mov_b32_e32 v80, v76
	v_fmac_f32_e32 v80, 0xbf5db3d7, v56
	v_fmac_f32_e32 v76, 0x3f5db3d7, v56
	v_add_f32_e32 v56, v77, v137
	v_mul_f32_e32 v138, v81, v47
	v_add_f32_e32 v81, v56, v127
	v_add_f32_e32 v56, v137, v127
	v_fmac_f32_e32 v138, v82, v46
	v_fma_f32 v77, -0.5, v56, v77
	v_sub_f32_e32 v56, v126, v138
	v_mov_b32_e32 v115, v77
	v_fmac_f32_e32 v115, 0x3f5db3d7, v56
	v_fmac_f32_e32 v77, 0xbf5db3d7, v56
	v_add_f32_e32 v56, v78, v126
	v_add_f32_e32 v82, v56, v138
	;; [unrolled: 1-line block ×3, first 2 shown]
	v_fmac_f32_e32 v78, -0.5, v56
	v_sub_f32_e32 v56, v137, v127
	v_mov_b32_e32 v116, v78
	v_fmac_f32_e32 v116, 0xbf5db3d7, v56
	v_fmac_f32_e32 v78, 0x3f5db3d7, v56
	v_add_f32_e32 v56, v58, v139
	v_add_f32_e32 v126, v56, v129
	;; [unrolled: 1-line block ×3, first 2 shown]
	v_fmac_f32_e32 v140, v57, v50
	v_fma_f32 v58, -0.5, v56, v58
	v_sub_f32_e32 v57, v128, v140
	v_mov_b32_e32 v56, v58
	v_fmac_f32_e32 v56, 0x3f5db3d7, v57
	v_fmac_f32_e32 v58, 0xbf5db3d7, v57
	v_add_f32_e32 v57, v59, v128
	v_add_f32_e32 v127, v57, v140
	;; [unrolled: 1-line block ×3, first 2 shown]
	v_fmac_f32_e32 v59, -0.5, v57
	v_sub_f32_e32 v83, v139, v129
	v_mov_b32_e32 v57, v59
	v_lshl_add_u32 v122, v117, 3, v121
	v_fmac_f32_e32 v57, 0xbf5db3d7, v83
	v_fmac_f32_e32 v59, 0x3f5db3d7, v83
	ds_write_b64 v118, v[60:61]
	ds_write2_b64 v122, v[67:68], v[71:72] offset0:65 offset1:78
	ds_write2_b64 v122, v[63:64], v[65:66] offset0:130 offset1:143
	;; [unrolled: 1-line block ×7, first 2 shown]
	s_waitcnt lgkmcnt(0)
	; wave barrier
	s_waitcnt lgkmcnt(0)
	global_load_dwordx2 v[60:61], v[84:85], off offset:1560
	global_load_dwordx2 v[71:72], v62, s[0:1] offset:120
	global_load_dwordx2 v[73:74], v62, s[0:1] offset:240
	;; [unrolled: 1-line block ×12, first 2 shown]
	ds_read2_b64 v[63:66], v118 offset1:15
	s_waitcnt vmcnt(12) lgkmcnt(0)
	v_mul_f32_e32 v67, v64, v61
	v_fma_f32 v136, v63, v60, -v67
	ds_read2_b64 v[67:70], v118 offset0:30 offset1:45
	v_mul_f32_e32 v137, v63, v61
	v_fmac_f32_e32 v137, v64, v60
	s_waitcnt vmcnt(11)
	v_mul_f32_e32 v60, v66, v72
	v_mul_f32_e32 v61, v65, v72
	v_fma_f32 v60, v65, v71, -v60
	v_fmac_f32_e32 v61, v66, v71
	ds_read2_b64 v[63:66], v118 offset0:60 offset1:75
	ds_write2_b64 v118, v[136:137], v[60:61] offset1:15
	s_waitcnt vmcnt(10) lgkmcnt(2)
	v_mul_f32_e32 v60, v68, v74
	v_mul_f32_e32 v61, v67, v74
	v_fma_f32 v60, v67, v73, -v60
	v_fmac_f32_e32 v61, v68, v73
	s_waitcnt vmcnt(9)
	v_mul_f32_e32 v67, v70, v76
	v_mul_f32_e32 v68, v69, v76
	v_fma_f32 v67, v69, v75, -v67
	v_fmac_f32_e32 v68, v70, v75
	ds_write2_b64 v118, v[60:61], v[67:68] offset0:30 offset1:45
	s_waitcnt vmcnt(8) lgkmcnt(2)
	v_mul_f32_e32 v60, v64, v78
	v_mul_f32_e32 v61, v63, v78
	ds_read2_b64 v[67:70], v118 offset0:90 offset1:105
	v_fma_f32 v60, v63, v77, -v60
	v_fmac_f32_e32 v61, v64, v77
	s_waitcnt vmcnt(7)
	v_mul_f32_e32 v63, v66, v80
	v_mul_f32_e32 v64, v65, v80
	v_fma_f32 v63, v65, v79, -v63
	v_fmac_f32_e32 v64, v66, v79
	ds_write2_b64 v118, v[60:61], v[63:64] offset0:60 offset1:75
	ds_read2_b64 v[63:66], v118 offset0:120 offset1:135
	s_waitcnt vmcnt(6) lgkmcnt(2)
	v_mul_f32_e32 v60, v68, v82
	v_mul_f32_e32 v61, v67, v82
	v_fma_f32 v60, v67, v81, -v60
	v_fmac_f32_e32 v61, v68, v81
	s_waitcnt vmcnt(5)
	v_mul_f32_e32 v67, v70, v116
	v_mul_f32_e32 v68, v69, v116
	v_fma_f32 v67, v69, v115, -v67
	v_fmac_f32_e32 v68, v70, v115
	ds_write2_b64 v118, v[60:61], v[67:68] offset0:90 offset1:105
	s_waitcnt vmcnt(4) lgkmcnt(1)
	v_mul_f32_e32 v60, v64, v127
	v_mul_f32_e32 v61, v63, v127
	v_fma_f32 v60, v63, v126, -v60
	v_fmac_f32_e32 v61, v64, v126
	s_waitcnt vmcnt(3)
	v_mul_f32_e32 v63, v66, v129
	ds_read2_b64 v[67:70], v118 offset0:150 offset1:165
	v_mul_f32_e32 v64, v65, v129
	v_fma_f32 v63, v65, v128, -v63
	v_fmac_f32_e32 v64, v66, v128
	ds_write2_b64 v118, v[60:61], v[63:64] offset0:120 offset1:135
	ds_read_b64 v[63:64], v118 offset:1440
	s_waitcnt vmcnt(2) lgkmcnt(2)
	v_mul_f32_e32 v60, v68, v131
	v_mul_f32_e32 v61, v67, v131
	s_waitcnt vmcnt(1)
	v_mul_f32_e32 v65, v70, v133
	v_mul_f32_e32 v66, v69, v133
	v_fma_f32 v60, v67, v130, -v60
	v_fmac_f32_e32 v61, v68, v130
	v_fma_f32 v65, v69, v132, -v65
	v_fmac_f32_e32 v66, v70, v132
	ds_write2_b64 v118, v[60:61], v[65:66] offset0:150 offset1:165
	s_waitcnt vmcnt(0) lgkmcnt(1)
	v_mul_f32_e32 v60, v64, v135
	v_mul_f32_e32 v61, v63, v135
	v_fma_f32 v60, v63, v134, -v60
	v_fmac_f32_e32 v61, v64, v134
	ds_write_b64 v118, v[60:61] offset:1440
	s_and_saveexec_b64 s[2:3], vcc
	s_cbranch_execz .LBB0_9
; %bb.8:
	v_mov_b32_e32 v61, s1
	v_add_co_u32_e64 v60, s[0:1], s0, v62
	v_addc_co_u32_e64 v61, s[0:1], 0, v61, s[0:1]
	global_load_dwordx2 v[62:63], v[60:61], off offset:104
	global_load_dwordx2 v[115:116], v[60:61], off offset:224
	;; [unrolled: 1-line block ×13, first 2 shown]
	ds_read_b64 v[60:61], v122 offset:104
	s_waitcnt vmcnt(12) lgkmcnt(0)
	v_mul_f32_e32 v65, v61, v63
	v_mul_f32_e32 v64, v60, v63
	v_fma_f32 v63, v60, v62, -v65
	v_fmac_f32_e32 v64, v61, v62
	ds_write_b64 v122, v[63:64] offset:104
	ds_read2_b64 v[60:63], v118 offset0:28 offset1:43
	ds_read2_b64 v[64:67], v118 offset0:58 offset1:73
	;; [unrolled: 1-line block ×6, first 2 shown]
	s_waitcnt vmcnt(11) lgkmcnt(5)
	v_mul_f32_e32 v149, v61, v116
	v_mul_f32_e32 v148, v60, v116
	s_waitcnt vmcnt(10)
	v_mul_f32_e32 v150, v63, v127
	v_mul_f32_e32 v116, v62, v127
	s_waitcnt vmcnt(9) lgkmcnt(4)
	v_mul_f32_e32 v151, v65, v129
	v_mul_f32_e32 v127, v64, v129
	s_waitcnt vmcnt(8)
	v_mul_f32_e32 v152, v67, v131
	v_mul_f32_e32 v129, v66, v131
	;; [unrolled: 6-line block ×6, first 2 shown]
	v_fma_f32 v147, v60, v115, -v149
	v_fmac_f32_e32 v148, v61, v115
	v_fma_f32 v115, v62, v126, -v150
	v_fmac_f32_e32 v116, v63, v126
	v_fma_f32 v126, v64, v128, -v151
	v_fmac_f32_e32 v127, v65, v128
	v_fma_f32 v128, v66, v130, -v152
	v_fmac_f32_e32 v129, v67, v130
	v_fma_f32 v130, v68, v132, -v153
	v_fmac_f32_e32 v131, v69, v132
	v_fma_f32 v132, v70, v134, -v154
	v_fmac_f32_e32 v133, v71, v134
	v_fma_f32 v134, v72, v136, -v155
	v_fmac_f32_e32 v135, v73, v136
	v_fma_f32 v136, v74, v138, -v156
	v_fmac_f32_e32 v137, v75, v138
	v_fma_f32 v138, v76, v140, -v157
	v_fmac_f32_e32 v139, v77, v140
	v_fma_f32 v140, v78, v142, -v158
	v_fmac_f32_e32 v141, v79, v142
	v_fma_f32 v142, v80, v144, -v159
	v_fmac_f32_e32 v143, v81, v144
	v_fma_f32 v144, v82, v146, -v160
	v_fmac_f32_e32 v145, v83, v146
	ds_write2_b64 v118, v[147:148], v[115:116] offset0:28 offset1:43
	ds_write2_b64 v118, v[126:127], v[128:129] offset0:58 offset1:73
	;; [unrolled: 1-line block ×6, first 2 shown]
.LBB0_9:
	s_or_b64 exec, exec, s[2:3]
	s_waitcnt lgkmcnt(0)
	; wave barrier
	s_waitcnt lgkmcnt(0)
	ds_read2_b64 v[80:83], v118 offset1:15
	ds_read2_b64 v[72:75], v118 offset0:30 offset1:45
	ds_read2_b64 v[64:67], v118 offset0:60 offset1:75
	;; [unrolled: 1-line block ×5, first 2 shown]
	ds_read_b64 v[115:116], v118 offset:1440
	s_and_saveexec_b64 s[0:1], vcc
	s_cbranch_execz .LBB0_11
; %bb.10:
	ds_read2_b64 v[56:59], v122 offset0:13 offset1:28
	ds_read2_b64 v[16:19], v122 offset0:43 offset1:58
	;; [unrolled: 1-line block ×6, first 2 shown]
	ds_read_b64 v[113:114], v122 offset:1544
.LBB0_11:
	s_or_b64 exec, exec, s[0:1]
	s_waitcnt lgkmcnt(6)
	v_add_f32_e32 v127, v80, v82
	v_add_f32_e32 v128, v81, v83
	s_waitcnt lgkmcnt(5)
	v_add_f32_e32 v127, v127, v72
	v_add_f32_e32 v128, v128, v73
	v_add_f32_e32 v127, v127, v74
	v_add_f32_e32 v128, v128, v75
	s_waitcnt lgkmcnt(4)
	v_add_f32_e32 v127, v127, v64
	v_add_f32_e32 v128, v128, v65
	;; [unrolled: 5-line block ×5, first 2 shown]
	v_add_f32_e32 v127, v127, v78
	s_waitcnt lgkmcnt(0)
	v_add_f32_e32 v130, v116, v83
	v_sub_f32_e32 v83, v83, v116
	v_add_f32_e32 v128, v128, v79
	v_add_f32_e32 v127, v127, v115
	;; [unrolled: 1-line block ×3, first 2 shown]
	v_sub_f32_e32 v82, v82, v115
	v_mul_f32_e32 v115, 0xbeedf032, v83
	v_mul_f32_e32 v133, 0xbf52af12, v83
	;; [unrolled: 1-line block ×6, first 2 shown]
	v_add_f32_e32 v128, v128, v116
	s_mov_b32 s2, 0x3f62ad3f
	v_mov_b32_e32 v116, v115
	s_mov_b32 s3, 0x3f116cb1
	v_mov_b32_e32 v134, v133
	;; [unrolled: 2-line block ×3, first 2 shown]
	v_mov_b32_e32 v142, v141
	v_mov_b32_e32 v146, v145
	;; [unrolled: 1-line block ×3, first 2 shown]
	v_fmac_f32_e32 v116, 0x3f62ad3f, v129
	v_mul_f32_e32 v131, 0x3f62ad3f, v130
	v_fma_f32 v115, v129, s2, -v115
	v_fmac_f32_e32 v134, 0x3f116cb1, v129
	v_mul_f32_e32 v135, 0x3f116cb1, v130
	v_fma_f32 v133, v129, s3, -v133
	;; [unrolled: 3-line block ×6, first 2 shown]
	v_add_f32_e32 v116, v80, v116
	v_mov_b32_e32 v132, v131
	v_add_f32_e32 v115, v80, v115
	v_add_f32_e32 v134, v80, v134
	v_mov_b32_e32 v136, v135
	v_add_f32_e32 v133, v80, v133
	;; [unrolled: 3-line block ×6, first 2 shown]
	v_add_f32_e32 v83, v79, v73
	v_sub_f32_e32 v73, v73, v79
	v_fmac_f32_e32 v132, 0x3eedf032, v82
	v_fmac_f32_e32 v131, 0xbeedf032, v82
	;; [unrolled: 1-line block ×12, first 2 shown]
	v_add_f32_e32 v82, v78, v72
	v_sub_f32_e32 v72, v72, v78
	v_mul_f32_e32 v78, 0xbf52af12, v73
	v_mov_b32_e32 v79, v78
	v_fmac_f32_e32 v79, 0x3f116cb1, v82
	v_add_f32_e32 v79, v79, v116
	v_mul_f32_e32 v116, 0x3f116cb1, v83
	v_add_f32_e32 v131, v81, v131
	v_mov_b32_e32 v129, v116
	v_fma_f32 v78, v82, s3, -v78
	v_fmac_f32_e32 v116, 0xbf52af12, v72
	v_add_f32_e32 v78, v78, v115
	v_add_f32_e32 v115, v116, v131
	v_mul_f32_e32 v116, 0xbf6f5d39, v73
	v_add_f32_e32 v132, v81, v132
	v_add_f32_e32 v136, v81, v136
	;; [unrolled: 1-line block ×11, first 2 shown]
	v_mov_b32_e32 v130, v116
	v_fma_f32 v116, v82, s5, -v116
	v_fmac_f32_e32 v129, 0x3f52af12, v72
	v_fmac_f32_e32 v130, 0xbeb58ec6, v82
	v_mul_f32_e32 v131, 0xbeb58ec6, v83
	v_add_f32_e32 v116, v116, v133
	v_mul_f32_e32 v133, 0xbe750f2a, v73
	v_add_f32_e32 v129, v129, v132
	v_add_f32_e32 v130, v130, v134
	v_mov_b32_e32 v132, v131
	v_fmac_f32_e32 v131, 0xbf6f5d39, v72
	v_mov_b32_e32 v134, v133
	v_fma_f32 v133, v82, s13, -v133
	v_fmac_f32_e32 v132, 0x3f6f5d39, v72
	v_add_f32_e32 v131, v131, v135
	v_fmac_f32_e32 v134, 0xbf788fa5, v82
	v_mul_f32_e32 v135, 0xbf788fa5, v83
	v_add_f32_e32 v133, v133, v137
	v_mul_f32_e32 v137, 0x3f29c268, v73
	v_add_f32_e32 v132, v132, v136
	v_add_f32_e32 v134, v134, v138
	v_mov_b32_e32 v136, v135
	v_fmac_f32_e32 v135, 0xbe750f2a, v72
	v_mov_b32_e32 v138, v137
	v_fma_f32 v137, v82, s12, -v137
	v_fmac_f32_e32 v136, 0x3e750f2a, v72
	v_add_f32_e32 v135, v135, v139
	v_fmac_f32_e32 v138, 0xbf3f9e67, v82
	v_mul_f32_e32 v139, 0xbf3f9e67, v83
	v_add_f32_e32 v137, v137, v141
	v_mul_f32_e32 v141, 0x3f7e222b, v73
	v_add_f32_e32 v136, v136, v140
	v_add_f32_e32 v138, v138, v142
	v_mov_b32_e32 v140, v139
	v_fmac_f32_e32 v139, 0x3f29c268, v72
	v_mov_b32_e32 v142, v141
	v_fmac_f32_e32 v140, 0xbf29c268, v72
	v_add_f32_e32 v139, v139, v143
	v_fmac_f32_e32 v142, 0x3df6dbef, v82
	v_mul_f32_e32 v143, 0x3df6dbef, v83
	v_mul_f32_e32 v83, 0x3f62ad3f, v83
	v_add_f32_e32 v140, v140, v144
	v_add_f32_e32 v142, v142, v146
	v_mov_b32_e32 v144, v143
	v_fma_f32 v141, v82, s4, -v141
	v_mul_f32_e32 v73, 0x3eedf032, v73
	v_mov_b32_e32 v146, v83
	v_fmac_f32_e32 v83, 0x3eedf032, v72
	v_fmac_f32_e32 v144, 0xbf7e222b, v72
	v_add_f32_e32 v141, v141, v145
	v_fmac_f32_e32 v143, 0x3f7e222b, v72
	v_mov_b32_e32 v145, v73
	v_fmac_f32_e32 v146, 0xbeedf032, v72
	v_fma_f32 v73, v82, s2, -v73
	v_add_f32_e32 v72, v83, v81
	v_add_f32_e32 v81, v77, v75
	v_sub_f32_e32 v75, v75, v77
	v_add_f32_e32 v73, v73, v80
	v_add_f32_e32 v80, v76, v74
	v_sub_f32_e32 v74, v74, v76
	v_mul_f32_e32 v76, 0xbf7e222b, v75
	v_mov_b32_e32 v77, v76
	v_fmac_f32_e32 v77, 0x3df6dbef, v80
	v_add_f32_e32 v77, v77, v79
	v_mul_f32_e32 v79, 0x3df6dbef, v81
	v_fmac_f32_e32 v145, 0x3f62ad3f, v82
	v_mov_b32_e32 v82, v79
	v_fma_f32 v76, v80, s4, -v76
	v_fmac_f32_e32 v79, 0xbf7e222b, v74
	v_add_f32_e32 v76, v76, v78
	v_add_f32_e32 v78, v79, v115
	v_mul_f32_e32 v79, 0xbe750f2a, v75
	v_mov_b32_e32 v83, v79
	v_fma_f32 v79, v80, s13, -v79
	v_fmac_f32_e32 v82, 0x3f7e222b, v74
	v_fmac_f32_e32 v83, 0xbf788fa5, v80
	v_mul_f32_e32 v115, 0xbf788fa5, v81
	v_add_f32_e32 v79, v79, v116
	v_mul_f32_e32 v116, 0x3f6f5d39, v75
	v_add_f32_e32 v82, v82, v129
	v_add_f32_e32 v83, v83, v130
	v_mov_b32_e32 v129, v115
	v_fmac_f32_e32 v115, 0xbe750f2a, v74
	v_mov_b32_e32 v130, v116
	v_fma_f32 v116, v80, s5, -v116
	v_fmac_f32_e32 v129, 0x3e750f2a, v74
	v_add_f32_e32 v115, v115, v131
	v_fmac_f32_e32 v130, 0xbeb58ec6, v80
	v_mul_f32_e32 v131, 0xbeb58ec6, v81
	v_add_f32_e32 v116, v116, v133
	v_mul_f32_e32 v133, 0x3eedf032, v75
	v_add_f32_e32 v129, v129, v132
	v_add_f32_e32 v130, v130, v134
	v_mov_b32_e32 v132, v131
	v_fmac_f32_e32 v131, 0x3f6f5d39, v74
	v_mov_b32_e32 v134, v133
	v_fma_f32 v133, v80, s2, -v133
	v_fmac_f32_e32 v132, 0xbf6f5d39, v74
	v_add_f32_e32 v131, v131, v135
	v_fmac_f32_e32 v134, 0x3f62ad3f, v80
	v_mul_f32_e32 v135, 0x3f62ad3f, v81
	v_add_f32_e32 v133, v133, v137
	v_mul_f32_e32 v137, 0xbf52af12, v75
	v_add_f32_e32 v132, v132, v136
	v_add_f32_e32 v134, v134, v138
	v_mov_b32_e32 v136, v135
	v_fmac_f32_e32 v135, 0x3eedf032, v74
	v_mov_b32_e32 v138, v137
	v_fma_f32 v137, v80, s3, -v137
	v_mul_f32_e32 v75, 0xbf29c268, v75
	v_fmac_f32_e32 v136, 0xbeedf032, v74
	v_add_f32_e32 v135, v135, v139
	v_fmac_f32_e32 v138, 0x3f116cb1, v80
	v_mul_f32_e32 v139, 0x3f116cb1, v81
	v_add_f32_e32 v137, v137, v141
	v_mov_b32_e32 v141, v75
	v_mul_f32_e32 v81, 0xbf3f9e67, v81
	v_fma_f32 v75, v80, s12, -v75
	v_add_f32_e32 v136, v136, v140
	v_add_f32_e32 v138, v138, v142
	v_mov_b32_e32 v140, v139
	v_mov_b32_e32 v142, v81
	v_add_f32_e32 v73, v75, v73
	v_add_f32_e32 v75, v71, v65
	v_sub_f32_e32 v65, v65, v71
	v_fmac_f32_e32 v140, 0x3f52af12, v74
	v_fmac_f32_e32 v139, 0xbf52af12, v74
	;; [unrolled: 1-line block ×4, first 2 shown]
	v_add_f32_e32 v74, v70, v64
	v_sub_f32_e32 v64, v64, v70
	v_mul_f32_e32 v70, 0xbf6f5d39, v65
	v_mov_b32_e32 v71, v70
	v_fmac_f32_e32 v71, 0xbeb58ec6, v74
	v_add_f32_e32 v71, v71, v77
	v_mul_f32_e32 v77, 0xbeb58ec6, v75
	v_fmac_f32_e32 v141, 0xbf3f9e67, v80
	v_mov_b32_e32 v80, v77
	v_fma_f32 v70, v74, s5, -v70
	v_fmac_f32_e32 v77, 0xbf6f5d39, v64
	v_add_f32_e32 v72, v81, v72
	v_fmac_f32_e32 v80, 0x3f6f5d39, v64
	v_add_f32_e32 v70, v70, v76
	v_add_f32_e32 v76, v77, v78
	v_mul_f32_e32 v77, 0x3f29c268, v65
	v_mul_f32_e32 v81, 0xbf3f9e67, v75
	v_add_f32_e32 v80, v80, v82
	v_mov_b32_e32 v78, v77
	v_mov_b32_e32 v82, v81
	v_fma_f32 v77, v74, s12, -v77
	v_fmac_f32_e32 v81, 0x3f29c268, v64
	v_fmac_f32_e32 v78, 0xbf3f9e67, v74
	v_add_f32_e32 v77, v77, v79
	v_add_f32_e32 v79, v81, v115
	v_mul_f32_e32 v81, 0x3eedf032, v65
	v_add_f32_e32 v78, v78, v83
	v_mov_b32_e32 v83, v81
	v_fma_f32 v81, v74, s2, -v81
	v_fmac_f32_e32 v82, 0xbf29c268, v64
	v_fmac_f32_e32 v83, 0x3f62ad3f, v74
	v_mul_f32_e32 v115, 0x3f62ad3f, v75
	v_add_f32_e32 v81, v81, v116
	v_mul_f32_e32 v116, 0xbf7e222b, v65
	v_add_f32_e32 v82, v82, v129
	v_add_f32_e32 v83, v83, v130
	v_mov_b32_e32 v129, v115
	v_fmac_f32_e32 v115, 0x3eedf032, v64
	v_mov_b32_e32 v130, v116
	v_fma_f32 v116, v74, s4, -v116
	v_fmac_f32_e32 v129, 0xbeedf032, v64
	v_add_f32_e32 v115, v115, v131
	v_fmac_f32_e32 v130, 0x3df6dbef, v74
	v_mul_f32_e32 v131, 0x3df6dbef, v75
	v_add_f32_e32 v116, v116, v133
	v_mul_f32_e32 v133, 0x3e750f2a, v65
	v_add_f32_e32 v129, v129, v132
	v_add_f32_e32 v130, v130, v134
	v_mov_b32_e32 v132, v131
	v_fmac_f32_e32 v131, 0xbf7e222b, v64
	v_mov_b32_e32 v134, v133
	v_fma_f32 v133, v74, s13, -v133
	v_mul_f32_e32 v65, 0x3f52af12, v65
	v_fmac_f32_e32 v132, 0x3f7e222b, v64
	v_add_f32_e32 v131, v131, v135
	v_fmac_f32_e32 v134, 0xbf788fa5, v74
	v_mul_f32_e32 v135, 0xbf788fa5, v75
	v_add_f32_e32 v133, v133, v137
	v_mov_b32_e32 v137, v65
	v_mul_f32_e32 v75, 0x3f116cb1, v75
	v_fma_f32 v65, v74, s3, -v65
	v_add_f32_e32 v132, v132, v136
	v_add_f32_e32 v134, v134, v138
	v_mov_b32_e32 v136, v135
	v_mov_b32_e32 v138, v75
	v_add_f32_e32 v65, v65, v73
	v_fmac_f32_e32 v75, 0x3f52af12, v64
	v_add_f32_e32 v73, v69, v67
	v_sub_f32_e32 v67, v67, v69
	v_fmac_f32_e32 v136, 0xbe750f2a, v64
	v_fmac_f32_e32 v135, 0x3e750f2a, v64
	;; [unrolled: 1-line block ×3, first 2 shown]
	v_add_f32_e32 v64, v75, v72
	v_add_f32_e32 v72, v68, v66
	v_sub_f32_e32 v66, v66, v68
	v_mul_f32_e32 v68, 0xbf29c268, v67
	v_mov_b32_e32 v69, v68
	v_fmac_f32_e32 v69, 0xbf3f9e67, v72
	v_add_f32_e32 v69, v69, v71
	v_mul_f32_e32 v71, 0xbf3f9e67, v73
	v_fmac_f32_e32 v137, 0x3f116cb1, v74
	v_mov_b32_e32 v74, v71
	v_fma_f32 v68, v72, s12, -v68
	v_fmac_f32_e32 v71, 0xbf29c268, v66
	v_add_f32_e32 v68, v68, v70
	v_add_f32_e32 v70, v71, v76
	v_mul_f32_e32 v71, 0x3f7e222b, v67
	v_mov_b32_e32 v75, v71
	v_fmac_f32_e32 v75, 0x3df6dbef, v72
	v_mul_f32_e32 v76, 0x3df6dbef, v73
	v_fma_f32 v71, v72, s4, -v71
	v_add_f32_e32 v75, v75, v78
	v_mov_b32_e32 v78, v76
	v_add_f32_e32 v71, v71, v77
	v_fmac_f32_e32 v76, 0x3f7e222b, v66
	v_mul_f32_e32 v77, 0xbf52af12, v67
	v_fmac_f32_e32 v74, 0x3f29c268, v66
	v_add_f32_e32 v76, v76, v79
	v_mov_b32_e32 v79, v77
	v_fma_f32 v77, v72, s3, -v77
	v_add_f32_e32 v74, v74, v80
	v_fmac_f32_e32 v78, 0xbf7e222b, v66
	v_fmac_f32_e32 v79, 0x3f116cb1, v72
	v_mul_f32_e32 v80, 0x3f116cb1, v73
	v_add_f32_e32 v77, v77, v81
	v_mul_f32_e32 v81, 0x3e750f2a, v67
	v_add_f32_e32 v78, v78, v82
	v_add_f32_e32 v79, v79, v83
	v_mov_b32_e32 v82, v80
	v_fmac_f32_e32 v80, 0xbf52af12, v66
	v_mov_b32_e32 v83, v81
	v_fma_f32 v81, v72, s13, -v81
	v_fmac_f32_e32 v82, 0x3f52af12, v66
	v_add_f32_e32 v80, v80, v115
	v_fmac_f32_e32 v83, 0xbf788fa5, v72
	v_mul_f32_e32 v115, 0xbf788fa5, v73
	v_add_f32_e32 v81, v81, v116
	v_mul_f32_e32 v116, 0x3eedf032, v67
	v_add_f32_e32 v82, v82, v129
	v_add_f32_e32 v83, v83, v130
	v_mov_b32_e32 v129, v115
	v_fmac_f32_e32 v115, 0x3e750f2a, v66
	v_mov_b32_e32 v130, v116
	v_add_f32_e32 v146, v146, v150
	v_add_f32_e32 v115, v115, v131
	v_fmac_f32_e32 v130, 0x3f62ad3f, v72
	v_mul_f32_e32 v131, 0x3f62ad3f, v73
	v_mul_f32_e32 v73, 0xbeb58ec6, v73
	v_add_f32_e32 v142, v142, v146
	v_add_f32_e32 v130, v130, v134
	v_mov_b32_e32 v134, v73
	v_add_f32_e32 v144, v144, v148
	v_add_f32_e32 v145, v145, v149
	;; [unrolled: 1-line block ×3, first 2 shown]
	v_fma_f32 v116, v72, s2, -v116
	v_mul_f32_e32 v67, 0xbf6f5d39, v67
	v_fmac_f32_e32 v134, 0x3f6f5d39, v66
	v_add_f32_e32 v143, v143, v147
	v_add_f32_e32 v140, v140, v144
	v_add_f32_e32 v141, v141, v145
	v_fmac_f32_e32 v129, 0xbe750f2a, v66
	v_add_f32_e32 v116, v116, v133
	v_mov_b32_e32 v133, v67
	v_add_f32_e32 v134, v134, v138
	v_add_f32_e32 v138, v63, v61
	;; [unrolled: 1-line block ×6, first 2 shown]
	v_mov_b32_e32 v132, v131
	v_fmac_f32_e32 v133, 0xbeb58ec6, v72
	v_sub_f32_e32 v140, v61, v63
	v_mul_f32_e32 v63, 0xbf788fa5, v138
	v_add_f32_e32 v135, v135, v139
	v_fmac_f32_e32 v132, 0xbeedf032, v66
	v_fmac_f32_e32 v131, 0x3eedf032, v66
	v_add_f32_e32 v133, v133, v137
	v_fmac_f32_e32 v73, 0xbf6f5d39, v66
	v_add_f32_e32 v137, v62, v60
	v_sub_f32_e32 v139, v60, v62
	v_mul_f32_e32 v62, 0xbe750f2a, v140
	v_mov_b32_e32 v61, v63
	v_mul_f32_e32 v66, 0x3eedf032, v140
	v_add_f32_e32 v132, v132, v136
	v_fma_f32 v67, v72, s5, -v67
	v_add_f32_e32 v136, v73, v64
	v_mov_b32_e32 v60, v62
	v_fmac_f32_e32 v61, 0x3e750f2a, v139
	v_fmac_f32_e32 v63, 0xbe750f2a, v139
	v_mov_b32_e32 v64, v66
	v_fma_f32 v66, v137, s2, -v66
	v_add_f32_e32 v131, v131, v135
	v_add_f32_e32 v135, v67, v65
	v_fmac_f32_e32 v60, 0xbf788fa5, v137
	v_add_f32_e32 v61, v61, v74
	v_fma_f32 v62, v137, s13, -v62
	v_add_f32_e32 v63, v63, v70
	v_mul_f32_e32 v67, 0x3f62ad3f, v138
	v_add_f32_e32 v66, v66, v71
	v_mul_f32_e32 v70, 0xbf29c268, v140
	v_mul_f32_e32 v71, 0xbf3f9e67, v138
	;; [unrolled: 1-line block ×3, first 2 shown]
	v_add_f32_e32 v60, v60, v69
	v_add_f32_e32 v62, v62, v68
	v_mov_b32_e32 v65, v67
	v_mov_b32_e32 v68, v70
	;; [unrolled: 1-line block ×4, first 2 shown]
	v_fmac_f32_e32 v64, 0x3f62ad3f, v137
	v_fmac_f32_e32 v65, 0xbeedf032, v139
	;; [unrolled: 1-line block ×5, first 2 shown]
	v_add_f32_e32 v64, v64, v75
	v_add_f32_e32 v65, v65, v78
	v_fmac_f32_e32 v67, 0x3eedf032, v139
	v_add_f32_e32 v68, v68, v79
	v_add_f32_e32 v69, v69, v82
	v_fma_f32 v70, v137, s12, -v70
	v_fmac_f32_e32 v71, 0xbf29c268, v139
	v_add_f32_e32 v72, v72, v83
	v_mul_f32_e32 v75, 0x3f116cb1, v138
	v_fma_f32 v74, v137, s3, -v74
	v_mul_f32_e32 v78, 0xbf6f5d39, v140
	v_mul_f32_e32 v79, 0xbeb58ec6, v138
	;; [unrolled: 1-line block ×4, first 2 shown]
	v_add_f32_e32 v67, v67, v76
	v_add_f32_e32 v70, v70, v77
	;; [unrolled: 1-line block ×3, first 2 shown]
	v_mov_b32_e32 v73, v75
	v_add_f32_e32 v74, v74, v81
	v_mov_b32_e32 v76, v78
	v_mov_b32_e32 v77, v79
	;; [unrolled: 1-line block ×4, first 2 shown]
	v_add_u32_e32 v126, 0x1a0, v118
	v_fmac_f32_e32 v73, 0xbf52af12, v139
	v_fmac_f32_e32 v75, 0x3f52af12, v139
	;; [unrolled: 1-line block ×4, first 2 shown]
	v_fma_f32 v78, v137, s5, -v78
	v_fmac_f32_e32 v79, 0xbf6f5d39, v139
	v_fmac_f32_e32 v80, 0x3df6dbef, v137
	;; [unrolled: 1-line block ×3, first 2 shown]
	v_fma_f32 v82, v137, s4, -v82
	v_fmac_f32_e32 v83, 0x3f7e222b, v139
	v_add_f32_e32 v73, v73, v129
	v_add_f32_e32 v75, v75, v115
	;; [unrolled: 1-line block ×10, first 2 shown]
	s_waitcnt lgkmcnt(0)
	; wave barrier
	ds_write2_b64 v125, v[127:128], v[60:61] offset1:1
	ds_write2_b64 v125, v[64:65], v[68:69] offset0:2 offset1:3
	ds_write2_b64 v125, v[72:73], v[76:77] offset0:4 offset1:5
	;; [unrolled: 1-line block ×5, first 2 shown]
	ds_write_b64 v125, v[62:63] offset:96
	s_and_saveexec_b64 s[0:1], vcc
	s_cbranch_execz .LBB0_13
; %bb.12:
	v_add_f32_e32 v70, v114, v59
	v_mul_f32_e32 v72, 0xbf788fa5, v70
	v_add_f32_e32 v71, v23, v17
	v_sub_f32_e32 v73, v58, v113
	v_mov_b32_e32 v60, v72
	v_mul_f32_e32 v74, 0x3f62ad3f, v71
	v_fmac_f32_e32 v60, 0x3e750f2a, v73
	v_sub_f32_e32 v75, v16, v22
	v_mov_b32_e32 v61, v74
	v_add_f32_e32 v76, v21, v19
	v_add_f32_e32 v60, v57, v60
	v_fmac_f32_e32 v61, 0xbeedf032, v75
	v_mul_f32_e32 v77, 0xbf3f9e67, v76
	v_add_f32_e32 v60, v61, v60
	v_sub_f32_e32 v78, v18, v20
	v_mov_b32_e32 v61, v77
	v_add_f32_e32 v79, v31, v25
	v_fmac_f32_e32 v61, 0x3f29c268, v78
	v_mul_f32_e32 v80, 0x3f116cb1, v79
	v_add_f32_e32 v60, v61, v60
	v_sub_f32_e32 v81, v24, v30
	v_mov_b32_e32 v61, v80
	v_add_f32_e32 v82, v29, v27
	v_fmac_f32_e32 v61, 0xbf52af12, v81
	v_mul_f32_e32 v83, 0xbeb58ec6, v82
	v_add_f32_e32 v60, v61, v60
	v_sub_f32_e32 v115, v26, v28
	v_mov_b32_e32 v61, v83
	v_add_f32_e32 v116, v55, v53
	v_fmac_f32_e32 v61, 0x3f6f5d39, v115
	v_mul_f32_e32 v125, 0x3df6dbef, v116
	v_add_f32_e32 v60, v61, v60
	v_sub_f32_e32 v127, v52, v54
	v_mov_b32_e32 v61, v125
	v_sub_f32_e32 v129, v59, v114
	v_fmac_f32_e32 v61, 0xbf7e222b, v127
	v_mul_f32_e32 v130, 0xbe750f2a, v129
	v_sub_f32_e32 v132, v17, v23
	v_add_f32_e32 v61, v61, v60
	v_add_f32_e32 v128, v113, v58
	v_mov_b32_e32 v60, v130
	v_mul_f32_e32 v133, 0x3eedf032, v132
	v_fmac_f32_e32 v60, 0xbf788fa5, v128
	v_add_f32_e32 v131, v22, v16
	v_mov_b32_e32 v62, v133
	v_sub_f32_e32 v135, v19, v21
	v_add_f32_e32 v60, v56, v60
	v_fmac_f32_e32 v62, 0x3f62ad3f, v131
	v_mul_f32_e32 v136, 0xbf29c268, v135
	v_add_f32_e32 v60, v62, v60
	v_add_f32_e32 v134, v20, v18
	v_mov_b32_e32 v62, v136
	v_sub_f32_e32 v138, v25, v31
	v_fmac_f32_e32 v62, 0xbf3f9e67, v134
	v_mul_f32_e32 v139, 0x3f52af12, v138
	v_add_f32_e32 v60, v62, v60
	v_add_f32_e32 v137, v30, v24
	v_mov_b32_e32 v62, v139
	v_sub_f32_e32 v141, v27, v29
	;; [unrolled: 6-line block ×3, first 2 shown]
	v_fmac_f32_e32 v62, 0xbeb58ec6, v140
	v_mul_f32_e32 v145, 0x3f7e222b, v144
	v_add_f32_e32 v60, v62, v60
	v_add_f32_e32 v143, v54, v52
	v_mov_b32_e32 v62, v145
	v_fmac_f32_e32 v62, 0x3df6dbef, v143
	v_mul_f32_e32 v146, 0xbf3f9e67, v70
	v_add_f32_e32 v60, v62, v60
	v_mov_b32_e32 v62, v146
	v_mul_f32_e32 v147, 0x3df6dbef, v71
	v_fmac_f32_e32 v62, 0x3f29c268, v73
	v_mov_b32_e32 v63, v147
	v_add_f32_e32 v62, v57, v62
	v_fmac_f32_e32 v63, 0xbf7e222b, v75
	v_mul_f32_e32 v148, 0x3f116cb1, v76
	v_add_f32_e32 v62, v63, v62
	v_mov_b32_e32 v63, v148
	v_fmac_f32_e32 v63, 0x3f52af12, v78
	v_mul_f32_e32 v149, 0xbf788fa5, v79
	v_add_f32_e32 v62, v63, v62
	v_mov_b32_e32 v63, v149
	v_fmac_f32_e32 v63, 0xbe750f2a, v81
	v_mul_f32_e32 v150, 0x3f62ad3f, v82
	v_add_f32_e32 v62, v63, v62
	v_mov_b32_e32 v63, v150
	v_fmac_f32_e32 v63, 0xbeedf032, v115
	v_mul_f32_e32 v151, 0xbeb58ec6, v116
	v_add_f32_e32 v62, v63, v62
	v_mov_b32_e32 v63, v151
	v_fmac_f32_e32 v63, 0x3f6f5d39, v127
	v_mul_f32_e32 v152, 0xbf29c268, v129
	v_add_f32_e32 v63, v63, v62
	v_mov_b32_e32 v62, v152
	v_mul_f32_e32 v153, 0x3f7e222b, v132
	v_fmac_f32_e32 v62, 0xbf3f9e67, v128
	v_mov_b32_e32 v64, v153
	v_add_f32_e32 v62, v56, v62
	v_fmac_f32_e32 v64, 0x3df6dbef, v131
	v_mul_f32_e32 v154, 0xbf52af12, v135
	v_add_f32_e32 v62, v64, v62
	v_mov_b32_e32 v64, v154
	v_fmac_f32_e32 v64, 0x3f116cb1, v134
	v_mul_f32_e32 v155, 0x3e750f2a, v138
	v_add_f32_e32 v62, v64, v62
	v_mov_b32_e32 v64, v155
	v_fmac_f32_e32 v64, 0xbf788fa5, v137
	v_mul_f32_e32 v156, 0x3eedf032, v141
	v_add_f32_e32 v62, v64, v62
	v_mov_b32_e32 v64, v156
	v_fmac_f32_e32 v64, 0x3f62ad3f, v140
	v_mul_f32_e32 v157, 0xbf6f5d39, v144
	v_add_f32_e32 v62, v64, v62
	v_mov_b32_e32 v64, v157
	v_fmac_f32_e32 v64, 0xbeb58ec6, v143
	v_mul_f32_e32 v158, 0xbeb58ec6, v70
	v_add_f32_e32 v62, v64, v62
	v_mov_b32_e32 v64, v158
	v_mul_f32_e32 v159, 0xbf3f9e67, v71
	v_fmac_f32_e32 v64, 0x3f6f5d39, v73
	v_mov_b32_e32 v65, v159
	v_add_f32_e32 v64, v57, v64
	v_fmac_f32_e32 v65, 0xbf29c268, v75
	v_mul_f32_e32 v160, 0x3f62ad3f, v76
	v_add_f32_e32 v64, v65, v64
	v_mov_b32_e32 v65, v160
	v_fmac_f32_e32 v65, 0xbeedf032, v78
	v_mul_f32_e32 v161, 0x3df6dbef, v79
	v_add_f32_e32 v64, v65, v64
	v_mov_b32_e32 v65, v161
	v_fmac_f32_e32 v65, 0x3f7e222b, v81
	v_mul_f32_e32 v162, 0xbf788fa5, v82
	v_add_f32_e32 v64, v65, v64
	v_mov_b32_e32 v65, v162
	v_fmac_f32_e32 v65, 0xbe750f2a, v115
	v_mul_f32_e32 v163, 0x3f116cb1, v116
	v_add_f32_e32 v64, v65, v64
	v_mov_b32_e32 v65, v163
	v_fmac_f32_e32 v65, 0xbf52af12, v127
	v_mul_f32_e32 v164, 0xbf6f5d39, v129
	v_add_f32_e32 v65, v65, v64
	v_mov_b32_e32 v64, v164
	v_mul_f32_e32 v165, 0x3f29c268, v132
	v_fmac_f32_e32 v64, 0xbeb58ec6, v128
	v_mov_b32_e32 v66, v165
	v_add_f32_e32 v64, v56, v64
	v_fmac_f32_e32 v66, 0xbf3f9e67, v131
	v_mul_f32_e32 v166, 0x3eedf032, v135
	v_add_f32_e32 v64, v66, v64
	v_mov_b32_e32 v66, v166
	v_fmac_f32_e32 v66, 0x3f62ad3f, v134
	v_mul_f32_e32 v167, 0xbf7e222b, v138
	v_add_f32_e32 v64, v66, v64
	v_mov_b32_e32 v66, v167
	v_fmac_f32_e32 v66, 0x3df6dbef, v137
	v_mul_f32_e32 v168, 0x3e750f2a, v141
	v_add_f32_e32 v64, v66, v64
	v_mov_b32_e32 v66, v168
	v_fmac_f32_e32 v66, 0xbf788fa5, v140
	v_mul_f32_e32 v169, 0x3f52af12, v144
	v_add_f32_e32 v64, v66, v64
	v_mov_b32_e32 v66, v169
	v_fmac_f32_e32 v66, 0x3f116cb1, v143
	v_mul_f32_e32 v170, 0x3df6dbef, v70
	v_add_f32_e32 v64, v66, v64
	v_mov_b32_e32 v66, v170
	v_mul_f32_e32 v171, 0xbf788fa5, v71
	v_add_f32_e32 v59, v59, v57
	v_fmac_f32_e32 v66, 0x3f7e222b, v73
	v_mov_b32_e32 v67, v171
	v_add_f32_e32 v17, v17, v59
	v_add_f32_e32 v66, v57, v66
	v_fmac_f32_e32 v67, 0x3e750f2a, v75
	v_mul_f32_e32 v172, 0xbeb58ec6, v76
	v_add_f32_e32 v17, v19, v17
	v_add_f32_e32 v19, v58, v56
	;; [unrolled: 1-line block ×3, first 2 shown]
	v_mov_b32_e32 v67, v172
	v_add_f32_e32 v16, v16, v19
	v_fmac_f32_e32 v67, 0xbf6f5d39, v78
	v_mul_f32_e32 v173, 0x3f62ad3f, v79
	v_add_f32_e32 v16, v18, v16
	v_fmac_f32_e32 v72, 0xbe750f2a, v73
	v_add_f32_e32 v66, v67, v66
	v_mov_b32_e32 v67, v173
	v_add_f32_e32 v16, v24, v16
	v_add_f32_e32 v18, v57, v72
	v_fmac_f32_e32 v74, 0x3eedf032, v75
	v_fmac_f32_e32 v67, 0xbeedf032, v81
	v_mul_f32_e32 v174, 0x3f116cb1, v82
	v_add_f32_e32 v16, v26, v16
	v_add_f32_e32 v18, v74, v18
	v_fmac_f32_e32 v77, 0xbf29c268, v78
	v_add_f32_e32 v66, v67, v66
	v_mov_b32_e32 v67, v174
	v_add_f32_e32 v16, v52, v16
	v_add_f32_e32 v18, v77, v18
	v_fmac_f32_e32 v80, 0x3f52af12, v81
	v_fmac_f32_e32 v67, 0x3f52af12, v115
	v_mul_f32_e32 v175, 0xbf3f9e67, v116
	v_add_f32_e32 v16, v54, v16
	;; [unrolled: 10-line block ×3, first 2 shown]
	v_add_f32_e32 v19, v125, v18
	v_fma_f32 v18, v128, s13, -v130
	v_add_f32_e32 v67, v67, v66
	v_mov_b32_e32 v66, v176
	v_mul_f32_e32 v177, 0xbe750f2a, v132
	v_add_f32_e32 v16, v20, v16
	v_add_f32_e32 v18, v56, v18
	v_fma_f32 v20, v131, s2, -v133
	v_fmac_f32_e32 v66, 0x3df6dbef, v128
	v_mov_b32_e32 v68, v177
	v_add_f32_e32 v18, v20, v18
	v_fma_f32 v20, v134, s12, -v136
	v_add_f32_e32 v66, v56, v66
	v_fmac_f32_e32 v68, 0xbf788fa5, v131
	v_mul_f32_e32 v178, 0x3f6f5d39, v135
	v_add_f32_e32 v18, v20, v18
	v_fma_f32 v20, v137, s3, -v139
	v_add_f32_e32 v66, v68, v66
	v_mov_b32_e32 v68, v178
	v_add_f32_e32 v18, v20, v18
	v_fma_f32 v20, v140, s5, -v142
	v_fmac_f32_e32 v68, 0xbeb58ec6, v134
	v_mul_f32_e32 v179, 0x3eedf032, v138
	v_add_f32_e32 v17, v25, v17
	v_add_f32_e32 v18, v20, v18
	v_fma_f32 v20, v143, s4, -v145
	v_fmac_f32_e32 v146, 0xbf29c268, v73
	v_add_f32_e32 v66, v68, v66
	v_mov_b32_e32 v68, v179
	v_add_f32_e32 v17, v27, v17
	v_add_f32_e32 v18, v20, v18
	;; [unrolled: 1-line block ×3, first 2 shown]
	v_fmac_f32_e32 v147, 0x3f7e222b, v75
	v_fmac_f32_e32 v68, 0x3f62ad3f, v137
	v_mul_f32_e32 v180, 0xbf52af12, v141
	v_add_f32_e32 v17, v53, v17
	v_add_f32_e32 v20, v147, v20
	v_fmac_f32_e32 v148, 0xbf52af12, v78
	v_add_f32_e32 v66, v68, v66
	v_mov_b32_e32 v68, v180
	v_add_f32_e32 v17, v55, v17
	v_add_f32_e32 v20, v148, v20
	v_fmac_f32_e32 v149, 0x3e750f2a, v81
	v_fmac_f32_e32 v68, 0x3f116cb1, v140
	v_mul_f32_e32 v181, 0xbf29c268, v144
	v_add_f32_e32 v17, v29, v17
	v_add_f32_e32 v20, v149, v20
	v_fmac_f32_e32 v150, 0x3eedf032, v115
	v_add_f32_e32 v66, v68, v66
	v_mov_b32_e32 v68, v181
	v_add_f32_e32 v17, v31, v17
	v_add_f32_e32 v20, v150, v20
	v_fmac_f32_e32 v151, 0xbf6f5d39, v127
	v_fmac_f32_e32 v68, 0xbf3f9e67, v143
	v_mul_f32_e32 v182, 0x3f116cb1, v70
	v_add_f32_e32 v17, v21, v17
	v_add_f32_e32 v21, v151, v20
	v_fma_f32 v20, v128, s12, -v152
	v_add_f32_e32 v66, v68, v66
	v_mov_b32_e32 v68, v182
	v_mul_f32_e32 v183, 0xbeb58ec6, v71
	v_add_f32_e32 v16, v22, v16
	v_add_f32_e32 v20, v56, v20
	v_fma_f32 v22, v131, s4, -v153
	v_fmac_f32_e32 v68, 0x3f52af12, v73
	v_mov_b32_e32 v69, v183
	v_add_f32_e32 v20, v22, v20
	v_fma_f32 v22, v134, s3, -v154
	v_add_f32_e32 v68, v57, v68
	v_fmac_f32_e32 v69, 0x3f6f5d39, v75
	v_mul_f32_e32 v184, 0xbf788fa5, v76
	v_add_f32_e32 v20, v22, v20
	v_fma_f32 v22, v137, s13, -v155
	v_add_f32_e32 v68, v69, v68
	v_mov_b32_e32 v69, v184
	v_add_f32_e32 v20, v22, v20
	v_fma_f32 v22, v140, s2, -v156
	v_fmac_f32_e32 v69, 0x3e750f2a, v78
	v_mul_f32_e32 v185, 0xbf3f9e67, v79
	v_add_f32_e32 v20, v22, v20
	v_fma_f32 v22, v143, s5, -v157
	v_fmac_f32_e32 v158, 0xbf6f5d39, v73
	v_add_f32_e32 v68, v69, v68
	v_mov_b32_e32 v69, v185
	v_add_f32_e32 v20, v22, v20
	v_add_f32_e32 v22, v57, v158
	v_fmac_f32_e32 v159, 0x3f29c268, v75
	v_fmac_f32_e32 v69, 0xbf29c268, v81
	v_mul_f32_e32 v186, 0x3df6dbef, v82
	v_add_f32_e32 v22, v159, v22
	v_fmac_f32_e32 v160, 0x3eedf032, v78
	v_add_f32_e32 v68, v69, v68
	v_mov_b32_e32 v69, v186
	v_add_f32_e32 v22, v160, v22
	v_fmac_f32_e32 v161, 0xbf7e222b, v81
	v_fmac_f32_e32 v69, 0xbf7e222b, v115
	v_mul_f32_e32 v187, 0x3f62ad3f, v116
	v_add_f32_e32 v22, v161, v22
	v_fmac_f32_e32 v162, 0x3e750f2a, v115
	v_add_f32_e32 v68, v69, v68
	v_mov_b32_e32 v69, v187
	v_add_f32_e32 v22, v162, v22
	v_fmac_f32_e32 v163, 0x3f52af12, v127
	v_fmac_f32_e32 v69, 0xbeedf032, v127
	v_mul_f32_e32 v188, 0xbf52af12, v129
	v_add_f32_e32 v17, v23, v17
	v_add_f32_e32 v23, v163, v22
	v_fma_f32 v22, v128, s5, -v164
	v_add_f32_e32 v69, v69, v68
	v_mov_b32_e32 v68, v188
	v_mul_f32_e32 v189, 0xbf6f5d39, v132
	v_add_f32_e32 v22, v56, v22
	v_fma_f32 v24, v131, s12, -v165
	v_fmac_f32_e32 v68, 0x3f116cb1, v128
	v_mov_b32_e32 v190, v189
	v_add_f32_e32 v22, v24, v22
	v_fma_f32 v24, v134, s2, -v166
	v_add_f32_e32 v68, v56, v68
	v_fmac_f32_e32 v190, 0xbeb58ec6, v131
	v_add_f32_e32 v22, v24, v22
	v_fma_f32 v24, v137, s4, -v167
	v_add_f32_e32 v68, v190, v68
	v_mul_f32_e32 v190, 0xbe750f2a, v135
	v_add_f32_e32 v22, v24, v22
	v_fma_f32 v24, v140, s13, -v168
	v_mov_b32_e32 v191, v190
	v_add_f32_e32 v22, v24, v22
	v_fma_f32 v24, v143, s3, -v169
	v_fmac_f32_e32 v170, 0xbf7e222b, v73
	v_fmac_f32_e32 v191, 0xbf788fa5, v134
	v_add_f32_e32 v22, v24, v22
	v_add_f32_e32 v24, v57, v170
	v_fmac_f32_e32 v171, 0xbe750f2a, v75
	v_add_f32_e32 v68, v191, v68
	v_mul_f32_e32 v191, 0x3f29c268, v138
	v_add_f32_e32 v24, v171, v24
	v_fmac_f32_e32 v172, 0x3f6f5d39, v78
	v_mov_b32_e32 v192, v191
	v_add_f32_e32 v24, v172, v24
	v_fmac_f32_e32 v173, 0x3eedf032, v81
	v_fmac_f32_e32 v192, 0xbf3f9e67, v137
	v_add_f32_e32 v24, v173, v24
	v_fmac_f32_e32 v174, 0xbf52af12, v115
	v_add_f32_e32 v68, v192, v68
	v_mul_f32_e32 v192, 0x3f7e222b, v141
	v_add_f32_e32 v24, v174, v24
	v_fmac_f32_e32 v175, 0xbf29c268, v127
	v_mov_b32_e32 v193, v192
	v_add_f32_e32 v25, v175, v24
	v_fma_f32 v24, v128, s4, -v176
	v_fmac_f32_e32 v193, 0x3df6dbef, v140
	v_add_f32_e32 v24, v56, v24
	v_fma_f32 v26, v131, s13, -v177
	v_add_f32_e32 v68, v193, v68
	v_mul_f32_e32 v193, 0x3eedf032, v144
	v_add_f32_e32 v24, v26, v24
	v_fma_f32 v26, v134, s5, -v178
	v_mov_b32_e32 v194, v193
	v_add_f32_e32 v24, v26, v24
	v_fma_f32 v26, v137, s2, -v179
	v_fmac_f32_e32 v194, 0x3f62ad3f, v143
	v_add_f32_e32 v24, v26, v24
	v_fma_f32 v26, v140, s3, -v180
	v_add_f32_e32 v68, v194, v68
	v_mul_f32_e32 v194, 0x3f62ad3f, v70
	v_add_f32_e32 v24, v26, v24
	v_fma_f32 v26, v143, s12, -v181
	v_fmac_f32_e32 v182, 0xbf52af12, v73
	v_mov_b32_e32 v70, v194
	v_mul_f32_e32 v195, 0x3f116cb1, v71
	v_add_f32_e32 v24, v26, v24
	v_add_f32_e32 v26, v57, v182
	v_fmac_f32_e32 v183, 0xbf6f5d39, v75
	v_fmac_f32_e32 v70, 0x3eedf032, v73
	v_mov_b32_e32 v71, v195
	v_add_f32_e32 v26, v183, v26
	v_fmac_f32_e32 v184, 0xbe750f2a, v78
	v_add_f32_e32 v70, v57, v70
	v_fmac_f32_e32 v71, 0x3f52af12, v75
	v_mul_f32_e32 v76, 0x3df6dbef, v76
	v_add_f32_e32 v26, v184, v26
	v_fmac_f32_e32 v185, 0x3f29c268, v81
	v_add_f32_e32 v70, v71, v70
	v_mov_b32_e32 v71, v76
	v_add_f32_e32 v26, v185, v26
	v_fmac_f32_e32 v186, 0x3f7e222b, v115
	v_fmac_f32_e32 v71, 0x3f7e222b, v78
	v_mul_f32_e32 v79, 0xbeb58ec6, v79
	v_add_f32_e32 v26, v186, v26
	v_fmac_f32_e32 v187, 0x3eedf032, v127
	v_add_f32_e32 v70, v71, v70
	v_mov_b32_e32 v71, v79
	v_add_f32_e32 v27, v187, v26
	v_fma_f32 v26, v128, s3, -v188
	v_fmac_f32_e32 v71, 0x3f6f5d39, v81
	v_mul_f32_e32 v82, 0xbf3f9e67, v82
	v_add_f32_e32 v26, v56, v26
	v_fma_f32 v28, v131, s5, -v189
	v_add_f32_e32 v70, v71, v70
	v_mov_b32_e32 v71, v82
	v_add_f32_e32 v26, v28, v26
	v_fma_f32 v28, v134, s13, -v190
	v_fmac_f32_e32 v71, 0x3f29c268, v115
	v_mul_f32_e32 v116, 0xbf788fa5, v116
	v_add_f32_e32 v26, v28, v26
	v_fma_f32 v28, v137, s12, -v191
	;; [unrolled: 8-line block ×3, first 2 shown]
	v_fmac_f32_e32 v194, 0xbeedf032, v73
	v_add_f32_e32 v71, v71, v70
	v_mov_b32_e32 v70, v129
	v_mul_f32_e32 v132, 0xbf52af12, v132
	v_add_f32_e32 v26, v28, v26
	v_add_f32_e32 v28, v57, v194
	v_fmac_f32_e32 v195, 0xbf52af12, v75
	v_fmac_f32_e32 v70, 0x3f62ad3f, v128
	v_mov_b32_e32 v196, v132
	v_add_f32_e32 v28, v195, v28
	v_fmac_f32_e32 v76, 0xbf7e222b, v78
	v_add_f32_e32 v70, v56, v70
	v_fmac_f32_e32 v196, 0x3f116cb1, v131
	v_mul_f32_e32 v135, 0xbf7e222b, v135
	v_add_f32_e32 v28, v76, v28
	v_fmac_f32_e32 v79, 0xbf6f5d39, v81
	v_add_f32_e32 v70, v196, v70
	v_mov_b32_e32 v196, v135
	v_add_f32_e32 v28, v79, v28
	v_fmac_f32_e32 v82, 0xbf29c268, v115
	v_fmac_f32_e32 v196, 0x3df6dbef, v134
	v_mul_f32_e32 v138, 0xbf6f5d39, v138
	v_add_f32_e32 v28, v82, v28
	v_fmac_f32_e32 v116, 0xbe750f2a, v127
	v_add_f32_e32 v70, v196, v70
	v_mov_b32_e32 v196, v138
	v_add_f32_e32 v29, v116, v28
	v_fma_f32 v28, v128, s2, -v129
	v_fmac_f32_e32 v196, 0xbeb58ec6, v137
	v_mul_f32_e32 v141, 0xbf29c268, v141
	v_add_f32_e32 v28, v56, v28
	v_fma_f32 v30, v131, s3, -v132
	v_add_f32_e32 v70, v196, v70
	v_mov_b32_e32 v196, v141
	v_add_f32_e32 v28, v30, v28
	v_fma_f32 v30, v134, s4, -v135
	v_fmac_f32_e32 v196, 0xbf3f9e67, v140
	v_mul_f32_e32 v144, 0xbe750f2a, v144
	v_add_f32_e32 v28, v30, v28
	v_fma_f32 v30, v137, s5, -v138
	v_add_f32_e32 v70, v196, v70
	v_mov_b32_e32 v196, v144
	v_add_f32_e32 v28, v30, v28
	v_fma_f32 v30, v140, s12, -v141
	v_fmac_f32_e32 v196, 0xbf788fa5, v143
	v_add_f32_e32 v28, v30, v28
	v_fma_f32 v30, v143, s13, -v144
	v_add_f32_e32 v70, v196, v70
	v_add_f32_e32 v17, v114, v17
	;; [unrolled: 1-line block ×4, first 2 shown]
	v_lshl_add_u32 v30, v123, 3, v121
	ds_write2_b64 v30, v[16:17], v[70:71] offset1:1
	ds_write2_b64 v30, v[68:69], v[66:67] offset0:2 offset1:3
	ds_write2_b64 v30, v[64:65], v[62:63] offset0:4 offset1:5
	;; [unrolled: 1-line block ×5, first 2 shown]
	ds_write_b64 v30, v[28:29] offset:96
.LBB0_13:
	s_or_b64 exec, exec, s[0:1]
	s_waitcnt lgkmcnt(0)
	; wave barrier
	s_waitcnt lgkmcnt(0)
	ds_read2_b64 v[18:21], v118 offset1:13
	ds_read2_b64 v[22:25], v118 offset0:26 offset1:39
	ds_read2_b64 v[26:29], v118 offset0:78 offset1:91
	;; [unrolled: 1-line block ×6, first 2 shown]
	ds_read_b64 v[30:31], v118 offset:1456
	s_waitcnt lgkmcnt(6)
	v_mul_f32_e32 v68, v5, v25
	v_fmac_f32_e32 v68, v4, v24
	v_mul_f32_e32 v24, v5, v24
	v_fma_f32 v24, v4, v25, -v24
	s_waitcnt lgkmcnt(5)
	v_mul_f32_e32 v25, v7, v27
	v_fmac_f32_e32 v25, v6, v26
	v_mul_f32_e32 v26, v7, v26
	v_fma_f32 v26, v6, v27, -v26
	;; [unrolled: 5-line block ×4, first 2 shown]
	s_waitcnt lgkmcnt(2)
	v_mul_f32_e32 v57, v5, v61
	v_mul_f32_e32 v5, v5, v60
	v_fmac_f32_e32 v57, v4, v60
	v_fma_f32 v60, v4, v61, -v5
	v_mul_f32_e32 v61, v7, v29
	v_mul_f32_e32 v4, v7, v28
	v_fmac_f32_e32 v61, v6, v28
	v_fma_f32 v28, v6, v29, -v4
	s_waitcnt lgkmcnt(1)
	v_mul_f32_e32 v29, v1, v65
	v_mul_f32_e32 v1, v1, v64
	v_fmac_f32_e32 v29, v0, v64
	v_fma_f32 v64, v0, v65, -v1
	v_mul_f32_e32 v65, v3, v59
	v_mul_f32_e32 v0, v3, v58
	v_add_f32_e32 v1, v25, v27
	v_fmac_f32_e32 v65, v2, v58
	v_fma_f32 v58, v2, v59, -v0
	v_fma_f32 v2, -0.5, v1, v18
	v_sub_f32_e32 v1, v24, v56
	v_mov_b32_e32 v4, v2
	v_fmac_f32_e32 v4, 0xbf737871, v1
	v_sub_f32_e32 v3, v26, v54
	v_sub_f32_e32 v5, v68, v25
	;; [unrolled: 1-line block ×3, first 2 shown]
	v_fmac_f32_e32 v2, 0x3f737871, v1
	v_mul_f32_e32 v59, v13, v63
	v_mul_f32_e32 v0, v13, v62
	v_fmac_f32_e32 v4, 0xbf167918, v3
	v_add_f32_e32 v5, v5, v6
	v_fmac_f32_e32 v2, 0x3f167918, v3
	v_fmac_f32_e32 v59, v12, v62
	v_fma_f32 v62, v12, v63, -v0
	v_mul_f32_e32 v63, v15, v53
	v_mul_f32_e32 v0, v15, v52
	v_fmac_f32_e32 v4, 0x3e9e377a, v5
	v_fmac_f32_e32 v2, 0x3e9e377a, v5
	v_add_f32_e32 v5, v68, v55
	v_fmac_f32_e32 v63, v14, v52
	v_fma_f32 v52, v14, v53, -v0
	v_mul_f32_e32 v53, v9, v67
	v_mul_f32_e32 v0, v9, v66
	v_fma_f32 v6, -0.5, v5, v18
	v_fmac_f32_e32 v53, v8, v66
	v_fma_f32 v66, v8, v67, -v0
	v_mov_b32_e32 v8, v6
	v_fmac_f32_e32 v8, 0x3f737871, v3
	v_sub_f32_e32 v5, v25, v68
	v_sub_f32_e32 v7, v27, v55
	v_fmac_f32_e32 v6, 0xbf737871, v3
	v_add_f32_e32 v3, v26, v54
	s_waitcnt lgkmcnt(0)
	v_mul_f32_e32 v67, v11, v31
	v_mul_f32_e32 v0, v11, v30
	v_fmac_f32_e32 v8, 0xbf167918, v1
	v_add_f32_e32 v5, v5, v7
	v_fmac_f32_e32 v6, 0x3f167918, v1
	v_fma_f32 v3, -0.5, v3, v19
	v_fmac_f32_e32 v67, v10, v30
	v_fma_f32 v69, v10, v31, -v0
	v_fmac_f32_e32 v8, 0x3e9e377a, v5
	v_fmac_f32_e32 v6, 0x3e9e377a, v5
	v_sub_f32_e32 v10, v68, v55
	v_mov_b32_e32 v5, v3
	v_fmac_f32_e32 v5, 0x3f737871, v10
	v_sub_f32_e32 v11, v25, v27
	v_sub_f32_e32 v7, v24, v26
	;; [unrolled: 1-line block ×3, first 2 shown]
	v_fmac_f32_e32 v3, 0xbf737871, v10
	v_fmac_f32_e32 v5, 0x3f167918, v11
	v_add_f32_e32 v7, v7, v9
	v_fmac_f32_e32 v3, 0xbf167918, v11
	v_fmac_f32_e32 v5, 0x3e9e377a, v7
	;; [unrolled: 1-line block ×3, first 2 shown]
	v_add_f32_e32 v7, v24, v56
	v_fma_f32 v7, -0.5, v7, v19
	v_mov_b32_e32 v9, v7
	v_fmac_f32_e32 v9, 0xbf737871, v11
	v_sub_f32_e32 v12, v26, v24
	v_sub_f32_e32 v13, v54, v56
	v_fmac_f32_e32 v7, 0x3f737871, v11
	v_fmac_f32_e32 v9, 0x3f167918, v10
	v_add_f32_e32 v12, v12, v13
	v_fmac_f32_e32 v7, 0xbf167918, v10
	v_add_f32_e32 v11, v61, v29
	v_fmac_f32_e32 v9, 0x3e9e377a, v12
	v_fmac_f32_e32 v7, 0x3e9e377a, v12
	v_fma_f32 v12, -0.5, v11, v20
	v_sub_f32_e32 v11, v60, v58
	v_mov_b32_e32 v14, v12
	v_add_f32_e32 v0, v18, v68
	v_fmac_f32_e32 v14, 0xbf737871, v11
	v_sub_f32_e32 v13, v28, v64
	v_sub_f32_e32 v15, v57, v61
	;; [unrolled: 1-line block ×3, first 2 shown]
	v_fmac_f32_e32 v12, 0x3f737871, v11
	v_fmac_f32_e32 v14, 0xbf167918, v13
	v_add_f32_e32 v15, v15, v18
	v_fmac_f32_e32 v12, 0x3f167918, v13
	v_fmac_f32_e32 v14, 0x3e9e377a, v15
	;; [unrolled: 1-line block ×3, first 2 shown]
	v_add_f32_e32 v15, v57, v65
	v_add_f32_e32 v10, v20, v57
	v_fma_f32 v20, -0.5, v15, v20
	v_mov_b32_e32 v18, v20
	v_add_f32_e32 v1, v19, v24
	v_fmac_f32_e32 v18, 0x3f737871, v13
	v_sub_f32_e32 v15, v61, v57
	v_sub_f32_e32 v19, v29, v65
	v_fmac_f32_e32 v20, 0xbf737871, v13
	v_add_f32_e32 v13, v28, v64
	v_fmac_f32_e32 v18, 0xbf167918, v11
	v_add_f32_e32 v15, v15, v19
	v_fmac_f32_e32 v20, 0x3f167918, v11
	v_fma_f32 v13, -0.5, v13, v21
	v_fmac_f32_e32 v18, 0x3e9e377a, v15
	v_fmac_f32_e32 v20, 0x3e9e377a, v15
	v_sub_f32_e32 v24, v57, v65
	v_mov_b32_e32 v15, v13
	v_add_f32_e32 v0, v0, v25
	v_add_f32_e32 v1, v1, v26
	v_fmac_f32_e32 v15, 0x3f737871, v24
	v_sub_f32_e32 v25, v61, v29
	v_sub_f32_e32 v19, v60, v28
	;; [unrolled: 1-line block ×3, first 2 shown]
	v_fmac_f32_e32 v13, 0xbf737871, v24
	v_fmac_f32_e32 v15, 0x3f167918, v25
	v_add_f32_e32 v19, v19, v26
	v_fmac_f32_e32 v13, 0xbf167918, v25
	v_fmac_f32_e32 v15, 0x3e9e377a, v19
	;; [unrolled: 1-line block ×3, first 2 shown]
	v_add_f32_e32 v19, v60, v58
	v_add_f32_e32 v11, v21, v60
	v_fmac_f32_e32 v21, -0.5, v19
	v_mov_b32_e32 v19, v21
	v_add_f32_e32 v0, v0, v27
	v_fmac_f32_e32 v19, 0xbf737871, v25
	v_sub_f32_e32 v26, v28, v60
	v_sub_f32_e32 v27, v64, v58
	v_fmac_f32_e32 v21, 0x3f737871, v25
	v_fmac_f32_e32 v19, 0x3f167918, v24
	v_add_f32_e32 v26, v26, v27
	v_fmac_f32_e32 v21, 0xbf167918, v24
	v_add_f32_e32 v25, v63, v53
	v_fmac_f32_e32 v19, 0x3e9e377a, v26
	v_fmac_f32_e32 v21, 0x3e9e377a, v26
	v_fma_f32 v26, -0.5, v25, v22
	v_add_f32_e32 v10, v10, v61
	v_add_f32_e32 v11, v11, v28
	v_sub_f32_e32 v25, v62, v69
	v_mov_b32_e32 v28, v26
	v_add_f32_e32 v10, v10, v29
	v_fmac_f32_e32 v28, 0xbf737871, v25
	v_sub_f32_e32 v27, v52, v66
	v_sub_f32_e32 v29, v59, v63
	;; [unrolled: 1-line block ×3, first 2 shown]
	v_fmac_f32_e32 v26, 0x3f737871, v25
	v_fmac_f32_e32 v28, 0xbf167918, v27
	v_add_f32_e32 v29, v29, v30
	v_fmac_f32_e32 v26, 0x3f167918, v27
	v_fmac_f32_e32 v28, 0x3e9e377a, v29
	v_fmac_f32_e32 v26, 0x3e9e377a, v29
	v_add_f32_e32 v29, v59, v67
	v_add_f32_e32 v24, v22, v59
	v_fma_f32 v22, -0.5, v29, v22
	v_mov_b32_e32 v30, v22
	v_fmac_f32_e32 v30, 0x3f737871, v27
	v_sub_f32_e32 v29, v63, v59
	v_sub_f32_e32 v31, v53, v67
	v_fmac_f32_e32 v22, 0xbf737871, v27
	v_add_f32_e32 v27, v52, v66
	v_fmac_f32_e32 v30, 0xbf167918, v25
	v_add_f32_e32 v29, v29, v31
	v_fmac_f32_e32 v22, 0x3f167918, v25
	v_fma_f32 v27, -0.5, v27, v23
	v_add_f32_e32 v1, v1, v54
	v_add_f32_e32 v24, v24, v63
	v_fmac_f32_e32 v30, 0x3e9e377a, v29
	v_fmac_f32_e32 v22, 0x3e9e377a, v29
	v_sub_f32_e32 v54, v59, v67
	v_mov_b32_e32 v29, v27
	v_add_f32_e32 v0, v0, v55
	v_add_f32_e32 v24, v24, v53
	v_fmac_f32_e32 v29, 0x3f737871, v54
	v_sub_f32_e32 v53, v63, v53
	v_sub_f32_e32 v31, v62, v52
	;; [unrolled: 1-line block ×3, first 2 shown]
	v_fmac_f32_e32 v27, 0xbf737871, v54
	v_fmac_f32_e32 v29, 0x3f167918, v53
	v_add_f32_e32 v31, v31, v55
	v_fmac_f32_e32 v27, 0xbf167918, v53
	v_fmac_f32_e32 v29, 0x3e9e377a, v31
	;; [unrolled: 1-line block ×3, first 2 shown]
	v_add_f32_e32 v31, v62, v69
	v_add_f32_e32 v25, v23, v62
	v_fmac_f32_e32 v23, -0.5, v31
	v_mov_b32_e32 v31, v23
	v_add_f32_e32 v25, v25, v52
	v_fmac_f32_e32 v31, 0xbf737871, v53
	v_sub_f32_e32 v52, v52, v62
	v_sub_f32_e32 v55, v66, v69
	v_fmac_f32_e32 v23, 0x3f737871, v53
	v_add_f32_e32 v11, v11, v64
	v_add_f32_e32 v25, v25, v66
	v_fmac_f32_e32 v31, 0x3f167918, v54
	v_add_f32_e32 v52, v52, v55
	v_fmac_f32_e32 v23, 0xbf167918, v54
	v_add_f32_e32 v1, v1, v56
	v_add_f32_e32 v10, v10, v65
	;; [unrolled: 1-line block ×5, first 2 shown]
	v_fmac_f32_e32 v31, 0x3e9e377a, v52
	v_fmac_f32_e32 v23, 0x3e9e377a, v52
	s_waitcnt lgkmcnt(0)
	; wave barrier
	ds_write2_b64 v118, v[0:1], v[4:5] offset1:13
	ds_write2_b64 v118, v[8:9], v[6:7] offset0:26 offset1:39
	ds_write2_b64 v118, v[2:3], v[10:11] offset0:52 offset1:65
	;; [unrolled: 1-line block ×6, first 2 shown]
	ds_write_b64 v124, v[26:27] offset:1456
	s_waitcnt lgkmcnt(0)
	; wave barrier
	s_waitcnt lgkmcnt(0)
	ds_read2_b64 v[0:3], v118 offset1:13
	ds_read2_b64 v[4:7], v118 offset0:52 offset1:65
	ds_read2_b64 v[8:11], v118 offset0:130 offset1:143
	;; [unrolled: 1-line block ×6, first 2 shown]
	ds_read_b64 v[30:31], v118 offset:1456
	s_waitcnt lgkmcnt(6)
	v_mul_f32_e32 v52, v33, v7
	v_fmac_f32_e32 v52, v32, v6
	v_mul_f32_e32 v6, v33, v6
	v_fma_f32 v32, v32, v7, -v6
	s_waitcnt lgkmcnt(5)
	v_mul_f32_e32 v6, v35, v8
	v_mul_f32_e32 v33, v35, v9
	v_fma_f32 v9, v34, v9, -v6
	s_waitcnt lgkmcnt(4)
	v_mul_f32_e32 v6, v37, v12
	v_fmac_f32_e32 v33, v34, v8
	v_mul_f32_e32 v34, v37, v13
	v_fma_f32 v13, v36, v13, -v6
	v_mul_f32_e32 v6, v39, v10
	v_fmac_f32_e32 v34, v36, v12
	v_mul_f32_e32 v35, v39, v11
	v_fma_f32 v36, v38, v11, -v6
	v_mul_f32_e32 v6, v41, v14
	v_fmac_f32_e32 v35, v38, v10
	v_fma_f32 v38, v40, v15, -v6
	s_waitcnt lgkmcnt(2)
	v_mul_f32_e32 v6, v43, v22
	v_mul_f32_e32 v37, v41, v15
	;; [unrolled: 1-line block ×3, first 2 shown]
	v_fma_f32 v23, v42, v23, -v6
	s_waitcnt lgkmcnt(1)
	v_mul_f32_e32 v6, v45, v26
	v_fmac_f32_e32 v37, v40, v14
	v_mul_f32_e32 v40, v45, v27
	v_fma_f32 v27, v44, v27, -v6
	v_mul_f32_e32 v6, v47, v24
	v_fmac_f32_e32 v39, v42, v22
	v_fma_f32 v42, v46, v25, -v6
	v_mul_f32_e32 v6, v49, v28
	v_fmac_f32_e32 v40, v44, v26
	v_fma_f32 v44, v48, v29, -v6
	s_waitcnt lgkmcnt(0)
	v_mul_f32_e32 v6, v51, v30
	v_add_f32_e32 v7, v52, v33
	v_mul_f32_e32 v45, v51, v31
	v_fma_f32 v31, v50, v31, -v6
	v_add_f32_e32 v6, v0, v52
	v_fma_f32 v0, -0.5, v7, v0
	v_sub_f32_e32 v7, v32, v9
	v_mov_b32_e32 v8, v0
	v_fmac_f32_e32 v8, 0xbf5db3d7, v7
	v_fmac_f32_e32 v0, 0x3f5db3d7, v7
	v_add_f32_e32 v7, v1, v32
	v_add_f32_e32 v7, v7, v9
	;; [unrolled: 1-line block ×3, first 2 shown]
	v_fma_f32 v1, -0.5, v9, v1
	v_sub_f32_e32 v10, v52, v33
	v_mov_b32_e32 v9, v1
	v_add_f32_e32 v11, v34, v35
	v_fmac_f32_e32 v9, 0x3f5db3d7, v10
	v_fmac_f32_e32 v1, 0xbf5db3d7, v10
	v_add_f32_e32 v10, v2, v34
	v_fma_f32 v2, -0.5, v11, v2
	v_sub_f32_e32 v11, v13, v36
	v_mov_b32_e32 v12, v2
	v_fmac_f32_e32 v12, 0xbf5db3d7, v11
	v_fmac_f32_e32 v2, 0x3f5db3d7, v11
	v_add_f32_e32 v11, v3, v13
	v_add_f32_e32 v13, v13, v36
	v_fmac_f32_e32 v3, -0.5, v13
	v_sub_f32_e32 v14, v34, v35
	v_mov_b32_e32 v13, v3
	v_add_f32_e32 v15, v37, v39
	v_fmac_f32_e32 v13, 0x3f5db3d7, v14
	v_fmac_f32_e32 v3, 0xbf5db3d7, v14
	v_add_f32_e32 v14, v18, v37
	v_fma_f32 v18, -0.5, v15, v18
	v_sub_f32_e32 v15, v38, v23
	v_mov_b32_e32 v22, v18
	v_fmac_f32_e32 v22, 0xbf5db3d7, v15
	v_fmac_f32_e32 v18, 0x3f5db3d7, v15
	v_add_f32_e32 v15, v19, v38
	v_mul_f32_e32 v41, v47, v25
	v_add_f32_e32 v15, v15, v23
	v_add_f32_e32 v23, v38, v23
	v_fmac_f32_e32 v41, v46, v24
	v_fma_f32 v19, -0.5, v23, v19
	v_sub_f32_e32 v24, v37, v39
	v_mov_b32_e32 v23, v19
	v_add_f32_e32 v25, v40, v41
	v_fmac_f32_e32 v23, 0x3f5db3d7, v24
	v_fmac_f32_e32 v19, 0xbf5db3d7, v24
	v_add_f32_e32 v24, v20, v40
	v_fma_f32 v20, -0.5, v25, v20
	v_sub_f32_e32 v25, v27, v42
	v_mov_b32_e32 v26, v20
	v_mul_f32_e32 v43, v49, v29
	v_fmac_f32_e32 v26, 0xbf5db3d7, v25
	v_fmac_f32_e32 v20, 0x3f5db3d7, v25
	v_add_f32_e32 v25, v21, v27
	v_add_f32_e32 v27, v27, v42
	v_fmac_f32_e32 v43, v48, v28
	v_fmac_f32_e32 v45, v50, v30
	v_fmac_f32_e32 v21, -0.5, v27
	v_sub_f32_e32 v28, v40, v41
	v_mov_b32_e32 v27, v21
	v_add_f32_e32 v29, v43, v45
	v_fmac_f32_e32 v27, 0x3f5db3d7, v28
	v_fmac_f32_e32 v21, 0xbf5db3d7, v28
	v_add_f32_e32 v28, v4, v43
	v_fma_f32 v4, -0.5, v29, v4
	v_sub_f32_e32 v29, v44, v31
	v_mov_b32_e32 v30, v4
	v_fmac_f32_e32 v30, 0xbf5db3d7, v29
	v_fmac_f32_e32 v4, 0x3f5db3d7, v29
	v_add_f32_e32 v29, v5, v44
	v_add_f32_e32 v29, v29, v31
	v_add_f32_e32 v31, v44, v31
	v_fmac_f32_e32 v5, -0.5, v31
	v_add_f32_e32 v6, v6, v33
	v_sub_f32_e32 v32, v43, v45
	v_mov_b32_e32 v31, v5
	v_add_f32_e32 v10, v10, v35
	v_add_f32_e32 v11, v11, v36
	;; [unrolled: 1-line block ×6, first 2 shown]
	v_fmac_f32_e32 v31, 0x3f5db3d7, v32
	v_fmac_f32_e32 v5, 0xbf5db3d7, v32
	ds_write_b64 v118, v[6:7]
	ds_write2_b64 v122, v[8:9], v[12:13] offset0:65 offset1:78
	ds_write2_b64 v122, v[0:1], v[2:3] offset0:130 offset1:143
	;; [unrolled: 1-line block ×7, first 2 shown]
	s_waitcnt lgkmcnt(0)
	; wave barrier
	s_waitcnt lgkmcnt(0)
	ds_read2_b64 v[0:3], v118 offset1:15
	s_mov_b32 s2, 0x15015015
	s_mov_b32 s3, 0x3f750150
	v_mad_u64_u32 v[16:17], s[0:1], s10, v98, 0
	s_waitcnt lgkmcnt(0)
	v_mul_f32_e32 v5, v112, v1
	v_fmac_f32_e32 v5, v111, v0
	v_cvt_f64_f32_e32 v[5:6], v5
	v_mul_f32_e32 v0, v112, v0
	v_fma_f32 v0, v111, v1, -v0
	v_cvt_f64_f32_e32 v[0:1], v0
	v_mul_f64 v[5:6], v[5:6], s[2:3]
	v_mad_u64_u32 v[7:8], s[0:1], s8, v117, 0
	v_mov_b32_e32 v4, v17
	v_mul_f64 v[0:1], v[0:1], s[2:3]
	s_mul_hi_u32 s4, s8, 0x78
	s_mul_i32 s5, s8, 0x78
	v_mad_u64_u32 v[9:10], s[0:1], s11, v98, v[4:5]
	v_mov_b32_e32 v4, v8
	v_mad_u64_u32 v[10:11], s[0:1], s9, v117, v[4:5]
	v_mov_b32_e32 v17, v9
	v_mul_f32_e32 v9, v110, v3
	v_fmac_f32_e32 v9, v109, v2
	v_mul_f32_e32 v2, v110, v2
	v_fma_f32 v2, v109, v3, -v2
	v_cvt_f32_f64_e32 v4, v[5:6]
	v_cvt_f32_f64_e32 v5, v[0:1]
	v_mov_b32_e32 v8, v10
	v_lshlrev_b64 v[0:1], 3, v[16:17]
	v_cvt_f64_f32_e32 v[9:10], v9
	v_cvt_f64_f32_e32 v[11:12], v2
	v_mov_b32_e32 v6, s7
	v_add_co_u32_e64 v2, s[0:1], s6, v0
	v_addc_co_u32_e64 v3, s[0:1], v6, v1, s[0:1]
	v_lshlrev_b64 v[0:1], 3, v[7:8]
	v_mul_f64 v[8:9], v[9:10], s[2:3]
	v_mul_f64 v[10:11], v[11:12], s[2:3]
	v_add_co_u32_e64 v0, s[0:1], v2, v0
	v_addc_co_u32_e64 v1, s[0:1], v3, v1, s[0:1]
	global_store_dwordx2 v[0:1], v[4:5], off
	ds_read2_b64 v[4:7], v118 offset0:30 offset1:45
	v_cvt_f32_f64_e32 v8, v[8:9]
	v_cvt_f32_f64_e32 v9, v[10:11]
	s_mul_i32 s0, s9, 0x78
	s_add_i32 s4, s4, s0
	s_waitcnt lgkmcnt(0)
	v_mul_f32_e32 v10, v106, v5
	v_fmac_f32_e32 v10, v105, v4
	v_mul_f32_e32 v4, v106, v4
	v_fma_f32 v4, v105, v5, -v4
	v_cvt_f64_f32_e32 v[4:5], v4
	v_cvt_f64_f32_e32 v[10:11], v10
	v_mov_b32_e32 v12, s4
	v_add_co_u32_e64 v0, s[0:1], s5, v0
	v_mul_f64 v[4:5], v[4:5], s[2:3]
	v_mul_f64 v[10:11], v[10:11], s[2:3]
	v_addc_co_u32_e64 v1, s[0:1], v1, v12, s[0:1]
	global_store_dwordx2 v[0:1], v[8:9], off
	v_mov_b32_e32 v14, s4
	v_add_co_u32_e64 v0, s[0:1], s5, v0
	v_cvt_f32_f64_e32 v9, v[4:5]
	v_mul_f32_e32 v4, v102, v7
	v_fmac_f32_e32 v4, v101, v6
	v_cvt_f32_f64_e32 v8, v[10:11]
	v_cvt_f64_f32_e32 v[10:11], v4
	v_mul_f32_e32 v4, v102, v6
	v_fma_f32 v4, v101, v7, -v4
	v_cvt_f64_f32_e32 v[12:13], v4
	ds_read2_b64 v[4:7], v118 offset0:60 offset1:75
	v_addc_co_u32_e64 v1, s[0:1], v1, v14, s[0:1]
	global_store_dwordx2 v[0:1], v[8:9], off
	v_mul_f64 v[8:9], v[10:11], s[2:3]
	v_mul_f64 v[10:11], v[12:13], s[2:3]
	s_waitcnt lgkmcnt(0)
	v_mul_f32_e32 v12, v108, v5
	v_fmac_f32_e32 v12, v107, v4
	v_mul_f32_e32 v4, v108, v4
	v_fma_f32 v4, v107, v5, -v4
	v_cvt_f64_f32_e32 v[4:5], v4
	v_cvt_f64_f32_e32 v[12:13], v12
	v_cvt_f32_f64_e32 v8, v[8:9]
	v_cvt_f32_f64_e32 v9, v[10:11]
	v_mul_f64 v[4:5], v[4:5], s[2:3]
	v_mul_f64 v[10:11], v[12:13], s[2:3]
	v_mov_b32_e32 v12, s4
	v_add_co_u32_e64 v0, s[0:1], s5, v0
	v_addc_co_u32_e64 v1, s[0:1], v1, v12, s[0:1]
	global_store_dwordx2 v[0:1], v[8:9], off
	v_cvt_f32_f64_e32 v9, v[4:5]
	v_mul_f32_e32 v4, v104, v7
	v_fmac_f32_e32 v4, v103, v6
	v_cvt_f32_f64_e32 v8, v[10:11]
	v_cvt_f64_f32_e32 v[10:11], v4
	v_mul_f32_e32 v4, v104, v6
	v_fma_f32 v4, v103, v7, -v4
	v_cvt_f64_f32_e32 v[12:13], v4
	ds_read2_b64 v[4:7], v118 offset0:90 offset1:105
	v_add_co_u32_e64 v0, s[0:1], s5, v0
	v_addc_co_u32_e64 v1, s[0:1], v1, v14, s[0:1]
	global_store_dwordx2 v[0:1], v[8:9], off
	v_mul_f64 v[8:9], v[10:11], s[2:3]
	v_mul_f64 v[10:11], v[12:13], s[2:3]
	s_waitcnt lgkmcnt(0)
	v_mul_f32_e32 v12, v100, v5
	v_fmac_f32_e32 v12, v99, v4
	v_mul_f32_e32 v4, v100, v4
	v_fma_f32 v4, v99, v5, -v4
	v_cvt_f64_f32_e32 v[4:5], v4
	v_cvt_f64_f32_e32 v[12:13], v12
	v_cvt_f32_f64_e32 v8, v[8:9]
	v_cvt_f32_f64_e32 v9, v[10:11]
	v_mul_f64 v[4:5], v[4:5], s[2:3]
	v_mul_f64 v[10:11], v[12:13], s[2:3]
	v_mov_b32_e32 v12, s4
	v_add_co_u32_e64 v0, s[0:1], s5, v0
	v_addc_co_u32_e64 v1, s[0:1], v1, v12, s[0:1]
	global_store_dwordx2 v[0:1], v[8:9], off
	v_cvt_f32_f64_e32 v9, v[4:5]
	v_mul_f32_e32 v4, v95, v7
	v_fmac_f32_e32 v4, v94, v6
	v_cvt_f32_f64_e32 v8, v[10:11]
	v_cvt_f64_f32_e32 v[10:11], v4
	v_mul_f32_e32 v4, v95, v6
	v_fma_f32 v4, v94, v7, -v4
	v_cvt_f64_f32_e32 v[12:13], v4
	ds_read2_b64 v[4:7], v118 offset0:120 offset1:135
	v_add_co_u32_e64 v0, s[0:1], s5, v0
	;; [unrolled: 29-line block ×3, first 2 shown]
	v_addc_co_u32_e64 v1, s[0:1], v1, v14, s[0:1]
	global_store_dwordx2 v[0:1], v[8:9], off
	v_mul_f64 v[8:9], v[10:11], s[2:3]
	v_mul_f64 v[10:11], v[12:13], s[2:3]
	s_waitcnt lgkmcnt(0)
	v_mul_f32_e32 v12, v93, v5
	v_fmac_f32_e32 v12, v92, v4
	v_mul_f32_e32 v4, v93, v4
	v_fma_f32 v4, v92, v5, -v4
	v_cvt_f64_f32_e32 v[4:5], v4
	v_cvt_f64_f32_e32 v[12:13], v12
	v_cvt_f32_f64_e32 v8, v[8:9]
	v_cvt_f32_f64_e32 v9, v[10:11]
	v_mul_f64 v[4:5], v[4:5], s[2:3]
	v_mul_f64 v[10:11], v[12:13], s[2:3]
	v_mov_b32_e32 v12, s4
	v_add_co_u32_e64 v0, s[0:1], s5, v0
	v_addc_co_u32_e64 v1, s[0:1], v1, v12, s[0:1]
	global_store_dwordx2 v[0:1], v[8:9], off
	v_cvt_f32_f64_e32 v9, v[4:5]
	v_mul_f32_e32 v4, v89, v7
	v_fmac_f32_e32 v4, v88, v6
	v_mul_f32_e32 v6, v89, v6
	v_fma_f32 v6, v88, v7, -v6
	v_cvt_f32_f64_e32 v8, v[10:11]
	v_cvt_f64_f32_e32 v[4:5], v4
	v_cvt_f64_f32_e32 v[6:7], v6
	ds_read_b64 v[10:11], v118 offset:1440
	v_add_co_u32_e64 v0, s[0:1], s5, v0
	v_addc_co_u32_e64 v1, s[0:1], v1, v12, s[0:1]
	v_mul_f64 v[4:5], v[4:5], s[2:3]
	v_mul_f64 v[6:7], v[6:7], s[2:3]
	global_store_dwordx2 v[0:1], v[8:9], off
	s_waitcnt lgkmcnt(0)
	v_mul_f32_e32 v8, v87, v11
	v_fmac_f32_e32 v8, v86, v10
	v_mul_f32_e32 v10, v87, v10
	v_fma_f32 v10, v86, v11, -v10
	v_cvt_f64_f32_e32 v[8:9], v8
	v_cvt_f64_f32_e32 v[10:11], v10
	v_cvt_f32_f64_e32 v4, v[4:5]
	v_cvt_f32_f64_e32 v5, v[6:7]
	v_mul_f64 v[6:7], v[8:9], s[2:3]
	v_mul_f64 v[8:9], v[10:11], s[2:3]
	v_mov_b32_e32 v10, s4
	v_add_co_u32_e64 v0, s[0:1], s5, v0
	v_addc_co_u32_e64 v1, s[0:1], v1, v10, s[0:1]
	global_store_dwordx2 v[0:1], v[4:5], off
	v_cvt_f32_f64_e32 v4, v[6:7]
	v_cvt_f32_f64_e32 v5, v[8:9]
	v_mov_b32_e32 v6, s4
	v_add_co_u32_e64 v0, s[0:1], s5, v0
	v_addc_co_u32_e64 v1, s[0:1], v1, v6, s[0:1]
	global_store_dwordx2 v[0:1], v[4:5], off
	s_and_b64 exec, exec, vcc
	s_cbranch_execz .LBB0_15
; %bb.14:
	global_load_dwordx2 v[4:5], v[84:85], off offset:104
	ds_read_b64 v[6:7], v122 offset:104
	s_mul_hi_u32 s4, s8, 0xf0
	s_waitcnt vmcnt(0) lgkmcnt(0)
	v_mul_f32_e32 v8, v7, v5
	v_mul_f32_e32 v5, v6, v5
	v_fmac_f32_e32 v8, v6, v4
	v_fma_f32 v6, v4, v7, -v5
	v_cvt_f64_f32_e32 v[4:5], v8
	v_cvt_f64_f32_e32 v[6:7], v6
	v_mov_b32_e32 v8, 0xfffffac8
	v_mad_u64_u32 v[0:1], s[0:1], s8, v8, v[0:1]
	v_mul_f64 v[4:5], v[4:5], s[2:3]
	v_mul_f64 v[6:7], v[6:7], s[2:3]
	s_mul_i32 s0, s9, 0xfffffac8
	s_sub_i32 s0, s0, s8
	v_add_u32_e32 v1, s0, v1
	v_mad_u64_u32 v[10:11], s[0:1], s8, v120, 0
	v_cvt_f32_f64_e32 v4, v[4:5]
	v_cvt_f32_f64_e32 v5, v[6:7]
	global_store_dwordx2 v[0:1], v[4:5], off
	global_load_dwordx2 v[8:9], v[84:85], off offset:224
	ds_read2_b64 v[4:7], v118 offset0:28 offset1:43
	s_waitcnt vmcnt(0) lgkmcnt(0)
	v_mul_f32_e32 v12, v5, v9
	v_mul_f32_e32 v9, v4, v9
	v_fmac_f32_e32 v12, v4, v8
	v_fma_f32 v8, v8, v5, -v9
	v_cvt_f64_f32_e32 v[4:5], v12
	v_cvt_f64_f32_e32 v[8:9], v8
	v_mad_u64_u32 v[11:12], s[0:1], s9, v120, v[11:12]
	v_mul_f64 v[4:5], v[4:5], s[2:3]
	v_mul_f64 v[8:9], v[8:9], s[2:3]
	v_lshlrev_b64 v[10:11], 3, v[10:11]
	s_mul_i32 s1, s9, 0xf0
	s_mul_i32 s0, s8, 0xf0
	s_add_i32 s1, s4, s1
	v_cvt_f32_f64_e32 v4, v[4:5]
	v_cvt_f32_f64_e32 v5, v[8:9]
	v_add_co_u32_e32 v8, vcc, v2, v10
	v_addc_co_u32_e32 v9, vcc, v3, v11, vcc
	global_store_dwordx2 v[8:9], v[4:5], off
	global_load_dwordx2 v[4:5], v[84:85], off offset:344
	v_add_co_u32_e32 v0, vcc, s0, v0
	v_mad_u64_u32 v[10:11], s[4:5], s8, v119, 0
	s_waitcnt vmcnt(0)
	v_mul_f32_e32 v8, v7, v5
	v_mul_f32_e32 v5, v6, v5
	v_fmac_f32_e32 v8, v6, v4
	v_fma_f32 v6, v4, v7, -v5
	v_cvt_f64_f32_e32 v[4:5], v8
	v_cvt_f64_f32_e32 v[6:7], v6
	v_mov_b32_e32 v8, s1
	v_addc_co_u32_e32 v1, vcc, v1, v8, vcc
	v_mul_f64 v[4:5], v[4:5], s[2:3]
	v_mul_f64 v[6:7], v[6:7], s[2:3]
	v_cvt_f32_f64_e32 v4, v[4:5]
	v_cvt_f32_f64_e32 v5, v[6:7]
	global_store_dwordx2 v[0:1], v[4:5], off
	global_load_dwordx2 v[8:9], v[84:85], off offset:464
	ds_read2_b64 v[4:7], v118 offset0:58 offset1:73
	s_waitcnt vmcnt(0) lgkmcnt(0)
	v_mul_f32_e32 v12, v5, v9
	v_mul_f32_e32 v9, v4, v9
	v_fmac_f32_e32 v12, v4, v8
	v_fma_f32 v8, v8, v5, -v9
	v_cvt_f64_f32_e32 v[4:5], v12
	v_cvt_f64_f32_e32 v[8:9], v8
	v_mad_u64_u32 v[11:12], s[4:5], s9, v119, v[11:12]
	v_mul_f64 v[4:5], v[4:5], s[2:3]
	v_mul_f64 v[8:9], v[8:9], s[2:3]
	v_lshlrev_b64 v[10:11], 3, v[10:11]
	v_or_b32_e32 v12, 0x58, v117
	v_cvt_f32_f64_e32 v4, v[4:5]
	v_cvt_f32_f64_e32 v5, v[8:9]
	v_add_co_u32_e32 v8, vcc, v2, v10
	v_addc_co_u32_e32 v9, vcc, v3, v11, vcc
	global_store_dwordx2 v[8:9], v[4:5], off
	global_load_dwordx2 v[4:5], v[84:85], off offset:584
	v_add_co_u32_e32 v0, vcc, s0, v0
	v_mad_u64_u32 v[10:11], s[4:5], s8, v12, 0
	v_mad_u64_u32 v[11:12], s[4:5], s9, v12, v[11:12]
	v_or_b32_e32 v12, 0x76, v117
	v_lshlrev_b64 v[10:11], 3, v[10:11]
	s_waitcnt vmcnt(0)
	v_mul_f32_e32 v8, v7, v5
	v_mul_f32_e32 v5, v6, v5
	v_fmac_f32_e32 v8, v6, v4
	v_fma_f32 v6, v4, v7, -v5
	v_cvt_f64_f32_e32 v[4:5], v8
	v_cvt_f64_f32_e32 v[6:7], v6
	v_mov_b32_e32 v8, s1
	v_addc_co_u32_e32 v1, vcc, v1, v8, vcc
	v_mul_f64 v[4:5], v[4:5], s[2:3]
	v_mul_f64 v[6:7], v[6:7], s[2:3]
	v_cvt_f32_f64_e32 v4, v[4:5]
	v_cvt_f32_f64_e32 v5, v[6:7]
	global_store_dwordx2 v[0:1], v[4:5], off
	global_load_dwordx2 v[8:9], v[84:85], off offset:704
	ds_read2_b64 v[4:7], v118 offset0:88 offset1:103
	s_waitcnt vmcnt(0) lgkmcnt(0)
	v_mul_f32_e32 v13, v5, v9
	v_mul_f32_e32 v9, v4, v9
	v_fmac_f32_e32 v13, v4, v8
	v_fma_f32 v8, v8, v5, -v9
	v_cvt_f64_f32_e32 v[4:5], v13
	v_cvt_f64_f32_e32 v[8:9], v8
	v_mul_f64 v[4:5], v[4:5], s[2:3]
	v_mul_f64 v[8:9], v[8:9], s[2:3]
	v_cvt_f32_f64_e32 v4, v[4:5]
	v_cvt_f32_f64_e32 v5, v[8:9]
	v_add_co_u32_e32 v8, vcc, v2, v10
	v_addc_co_u32_e32 v9, vcc, v3, v11, vcc
	global_store_dwordx2 v[8:9], v[4:5], off
	global_load_dwordx2 v[4:5], v[84:85], off offset:824
	v_add_co_u32_e32 v0, vcc, s0, v0
	v_mad_u64_u32 v[10:11], s[4:5], s8, v12, 0
	v_mad_u64_u32 v[11:12], s[4:5], s9, v12, v[11:12]
	v_or_b32_e32 v12, 0x94, v117
	v_lshlrev_b64 v[10:11], 3, v[10:11]
	s_waitcnt vmcnt(0)
	v_mul_f32_e32 v8, v7, v5
	v_mul_f32_e32 v5, v6, v5
	v_fmac_f32_e32 v8, v6, v4
	v_fma_f32 v6, v4, v7, -v5
	v_cvt_f64_f32_e32 v[4:5], v8
	v_cvt_f64_f32_e32 v[6:7], v6
	v_mov_b32_e32 v8, s1
	v_addc_co_u32_e32 v1, vcc, v1, v8, vcc
	v_mul_f64 v[4:5], v[4:5], s[2:3]
	v_mul_f64 v[6:7], v[6:7], s[2:3]
	v_cvt_f32_f64_e32 v4, v[4:5]
	v_cvt_f32_f64_e32 v5, v[6:7]
	global_store_dwordx2 v[0:1], v[4:5], off
	global_load_dwordx2 v[8:9], v[84:85], off offset:944
	ds_read2_b64 v[4:7], v118 offset0:118 offset1:133
	s_waitcnt vmcnt(0) lgkmcnt(0)
	v_mul_f32_e32 v13, v5, v9
	v_mul_f32_e32 v9, v4, v9
	v_fmac_f32_e32 v13, v4, v8
	v_fma_f32 v8, v8, v5, -v9
	v_cvt_f64_f32_e32 v[4:5], v13
	v_cvt_f64_f32_e32 v[8:9], v8
	v_mul_f64 v[4:5], v[4:5], s[2:3]
	v_mul_f64 v[8:9], v[8:9], s[2:3]
	;; [unrolled: 36-line block ×3, first 2 shown]
	v_cvt_f32_f64_e32 v4, v[4:5]
	v_cvt_f32_f64_e32 v5, v[8:9]
	v_add_co_u32_e32 v8, vcc, v2, v10
	v_addc_co_u32_e32 v9, vcc, v3, v11, vcc
	global_store_dwordx2 v[8:9], v[4:5], off
	global_load_dwordx2 v[4:5], v[84:85], off offset:1304
	v_add_co_u32_e32 v0, vcc, s0, v0
	v_mad_u64_u32 v[10:11], s[4:5], s8, v12, 0
	v_mad_u64_u32 v[11:12], s[4:5], s9, v12, v[11:12]
	v_lshlrev_b64 v[10:11], 3, v[10:11]
	s_waitcnt vmcnt(0)
	v_mul_f32_e32 v8, v7, v5
	v_mul_f32_e32 v5, v6, v5
	v_fmac_f32_e32 v8, v6, v4
	v_fma_f32 v6, v4, v7, -v5
	v_cvt_f64_f32_e32 v[4:5], v8
	v_cvt_f64_f32_e32 v[6:7], v6
	v_mov_b32_e32 v8, s1
	v_addc_co_u32_e32 v1, vcc, v1, v8, vcc
	v_mul_f64 v[4:5], v[4:5], s[2:3]
	v_mul_f64 v[6:7], v[6:7], s[2:3]
	v_add_co_u32_e32 v2, vcc, v2, v10
	v_addc_co_u32_e32 v3, vcc, v3, v11, vcc
	v_cvt_f32_f64_e32 v4, v[4:5]
	v_cvt_f32_f64_e32 v5, v[6:7]
	global_store_dwordx2 v[0:1], v[4:5], off
	global_load_dwordx2 v[8:9], v[84:85], off offset:1424
	ds_read2_b64 v[4:7], v118 offset0:178 offset1:193
	v_add_co_u32_e32 v0, vcc, s0, v0
	s_waitcnt vmcnt(0) lgkmcnt(0)
	v_mul_f32_e32 v13, v5, v9
	v_mul_f32_e32 v9, v4, v9
	v_fmac_f32_e32 v13, v4, v8
	v_fma_f32 v8, v8, v5, -v9
	v_cvt_f64_f32_e32 v[4:5], v13
	v_cvt_f64_f32_e32 v[8:9], v8
	v_mul_f64 v[4:5], v[4:5], s[2:3]
	v_mul_f64 v[8:9], v[8:9], s[2:3]
	v_cvt_f32_f64_e32 v4, v[4:5]
	v_cvt_f32_f64_e32 v5, v[8:9]
	global_store_dwordx2 v[2:3], v[4:5], off
	global_load_dwordx2 v[2:3], v[84:85], off offset:1544
	s_waitcnt vmcnt(0)
	v_mul_f32_e32 v4, v7, v3
	v_mul_f32_e32 v3, v6, v3
	v_fmac_f32_e32 v4, v6, v2
	v_fma_f32 v5, v2, v7, -v3
	v_cvt_f64_f32_e32 v[2:3], v4
	v_cvt_f64_f32_e32 v[4:5], v5
	v_mov_b32_e32 v6, s1
	v_addc_co_u32_e32 v1, vcc, v1, v6, vcc
	v_mul_f64 v[2:3], v[2:3], s[2:3]
	v_mul_f64 v[4:5], v[4:5], s[2:3]
	v_cvt_f32_f64_e32 v2, v[2:3]
	v_cvt_f32_f64_e32 v3, v[4:5]
	global_store_dwordx2 v[0:1], v[2:3], off
.LBB0_15:
	s_endpgm
	.section	.rodata,"a",@progbits
	.p2align	6, 0x0
	.amdhsa_kernel bluestein_single_fwd_len195_dim1_sp_op_CI_CI
		.amdhsa_group_segment_fixed_size 6240
		.amdhsa_private_segment_fixed_size 0
		.amdhsa_kernarg_size 104
		.amdhsa_user_sgpr_count 6
		.amdhsa_user_sgpr_private_segment_buffer 1
		.amdhsa_user_sgpr_dispatch_ptr 0
		.amdhsa_user_sgpr_queue_ptr 0
		.amdhsa_user_sgpr_kernarg_segment_ptr 1
		.amdhsa_user_sgpr_dispatch_id 0
		.amdhsa_user_sgpr_flat_scratch_init 0
		.amdhsa_user_sgpr_private_segment_size 0
		.amdhsa_uses_dynamic_stack 0
		.amdhsa_system_sgpr_private_segment_wavefront_offset 0
		.amdhsa_system_sgpr_workgroup_id_x 1
		.amdhsa_system_sgpr_workgroup_id_y 0
		.amdhsa_system_sgpr_workgroup_id_z 0
		.amdhsa_system_sgpr_workgroup_info 0
		.amdhsa_system_vgpr_workitem_id 0
		.amdhsa_next_free_vgpr 197
		.amdhsa_next_free_sgpr 18
		.amdhsa_reserve_vcc 1
		.amdhsa_reserve_flat_scratch 0
		.amdhsa_float_round_mode_32 0
		.amdhsa_float_round_mode_16_64 0
		.amdhsa_float_denorm_mode_32 3
		.amdhsa_float_denorm_mode_16_64 3
		.amdhsa_dx10_clamp 1
		.amdhsa_ieee_mode 1
		.amdhsa_fp16_overflow 0
		.amdhsa_exception_fp_ieee_invalid_op 0
		.amdhsa_exception_fp_denorm_src 0
		.amdhsa_exception_fp_ieee_div_zero 0
		.amdhsa_exception_fp_ieee_overflow 0
		.amdhsa_exception_fp_ieee_underflow 0
		.amdhsa_exception_fp_ieee_inexact 0
		.amdhsa_exception_int_div_zero 0
	.end_amdhsa_kernel
	.text
.Lfunc_end0:
	.size	bluestein_single_fwd_len195_dim1_sp_op_CI_CI, .Lfunc_end0-bluestein_single_fwd_len195_dim1_sp_op_CI_CI
                                        ; -- End function
	.section	.AMDGPU.csdata,"",@progbits
; Kernel info:
; codeLenInByte = 22012
; NumSgprs: 22
; NumVgprs: 197
; ScratchSize: 0
; MemoryBound: 0
; FloatMode: 240
; IeeeMode: 1
; LDSByteSize: 6240 bytes/workgroup (compile time only)
; SGPRBlocks: 2
; VGPRBlocks: 49
; NumSGPRsForWavesPerEU: 22
; NumVGPRsForWavesPerEU: 197
; Occupancy: 1
; WaveLimiterHint : 1
; COMPUTE_PGM_RSRC2:SCRATCH_EN: 0
; COMPUTE_PGM_RSRC2:USER_SGPR: 6
; COMPUTE_PGM_RSRC2:TRAP_HANDLER: 0
; COMPUTE_PGM_RSRC2:TGID_X_EN: 1
; COMPUTE_PGM_RSRC2:TGID_Y_EN: 0
; COMPUTE_PGM_RSRC2:TGID_Z_EN: 0
; COMPUTE_PGM_RSRC2:TIDIG_COMP_CNT: 0
	.type	__hip_cuid_7744b3119102e80c,@object ; @__hip_cuid_7744b3119102e80c
	.section	.bss,"aw",@nobits
	.globl	__hip_cuid_7744b3119102e80c
__hip_cuid_7744b3119102e80c:
	.byte	0                               ; 0x0
	.size	__hip_cuid_7744b3119102e80c, 1

	.ident	"AMD clang version 19.0.0git (https://github.com/RadeonOpenCompute/llvm-project roc-6.4.0 25133 c7fe45cf4b819c5991fe208aaa96edf142730f1d)"
	.section	".note.GNU-stack","",@progbits
	.addrsig
	.addrsig_sym __hip_cuid_7744b3119102e80c
	.amdgpu_metadata
---
amdhsa.kernels:
  - .args:
      - .actual_access:  read_only
        .address_space:  global
        .offset:         0
        .size:           8
        .value_kind:     global_buffer
      - .actual_access:  read_only
        .address_space:  global
        .offset:         8
        .size:           8
        .value_kind:     global_buffer
      - .actual_access:  read_only
        .address_space:  global
        .offset:         16
        .size:           8
        .value_kind:     global_buffer
      - .actual_access:  read_only
        .address_space:  global
        .offset:         24
        .size:           8
        .value_kind:     global_buffer
      - .actual_access:  read_only
        .address_space:  global
        .offset:         32
        .size:           8
        .value_kind:     global_buffer
      - .offset:         40
        .size:           8
        .value_kind:     by_value
      - .address_space:  global
        .offset:         48
        .size:           8
        .value_kind:     global_buffer
      - .address_space:  global
        .offset:         56
        .size:           8
        .value_kind:     global_buffer
      - .address_space:  global
        .offset:         64
        .size:           8
        .value_kind:     global_buffer
      - .address_space:  global
        .offset:         72
        .size:           8
        .value_kind:     global_buffer
      - .offset:         80
        .size:           4
        .value_kind:     by_value
      - .address_space:  global
        .offset:         88
        .size:           8
        .value_kind:     global_buffer
      - .address_space:  global
        .offset:         96
        .size:           8
        .value_kind:     global_buffer
    .group_segment_fixed_size: 6240
    .kernarg_segment_align: 8
    .kernarg_segment_size: 104
    .language:       OpenCL C
    .language_version:
      - 2
      - 0
    .max_flat_workgroup_size: 52
    .name:           bluestein_single_fwd_len195_dim1_sp_op_CI_CI
    .private_segment_fixed_size: 0
    .sgpr_count:     22
    .sgpr_spill_count: 0
    .symbol:         bluestein_single_fwd_len195_dim1_sp_op_CI_CI.kd
    .uniform_work_group_size: 1
    .uses_dynamic_stack: false
    .vgpr_count:     197
    .vgpr_spill_count: 0
    .wavefront_size: 64
amdhsa.target:   amdgcn-amd-amdhsa--gfx906
amdhsa.version:
  - 1
  - 2
...

	.end_amdgpu_metadata
